;; amdgpu-corpus repo=ROCm/rocFFT kind=compiled arch=gfx950 opt=O3
	.text
	.amdgcn_target "amdgcn-amd-amdhsa--gfx950"
	.amdhsa_code_object_version 6
	.protected	fft_rtc_back_len1248_factors_2_2_13_2_3_2_2_wgs_52_tpt_52_halfLds_dp_op_CI_CI_sbrr_dirReg ; -- Begin function fft_rtc_back_len1248_factors_2_2_13_2_3_2_2_wgs_52_tpt_52_halfLds_dp_op_CI_CI_sbrr_dirReg
	.globl	fft_rtc_back_len1248_factors_2_2_13_2_3_2_2_wgs_52_tpt_52_halfLds_dp_op_CI_CI_sbrr_dirReg
	.p2align	8
	.type	fft_rtc_back_len1248_factors_2_2_13_2_3_2_2_wgs_52_tpt_52_halfLds_dp_op_CI_CI_sbrr_dirReg,@function
fft_rtc_back_len1248_factors_2_2_13_2_3_2_2_wgs_52_tpt_52_halfLds_dp_op_CI_CI_sbrr_dirReg: ; @fft_rtc_back_len1248_factors_2_2_13_2_3_2_2_wgs_52_tpt_52_halfLds_dp_op_CI_CI_sbrr_dirReg
; %bb.0:
	s_load_dwordx4 s[12:15], s[0:1], 0x18
	s_load_dwordx4 s[8:11], s[0:1], 0x0
	;; [unrolled: 1-line block ×3, first 2 shown]
	v_mul_u32_u24_e32 v1, 0x4ed, v0
	v_add_u32_sdwa v6, s2, v1 dst_sel:DWORD dst_unused:UNUSED_PAD src0_sel:DWORD src1_sel:WORD_1
	s_waitcnt lgkmcnt(0)
	s_load_dwordx2 s[18:19], s[12:13], 0x0
	s_load_dwordx2 s[16:17], s[14:15], 0x0
	v_mov_b32_e32 v2, 0
	v_cmp_lt_u64_e64 s[2:3], s[10:11], 2
	v_mov_b32_e32 v7, v2
	s_and_b64 vcc, exec, s[2:3]
	v_mov_b64_e32 v[4:5], 0
	s_cbranch_vccnz .LBB0_8
; %bb.1:
	s_load_dwordx2 s[2:3], s[0:1], 0x10
	s_add_u32 s20, s14, 8
	s_addc_u32 s21, s15, 0
	s_add_u32 s22, s12, 8
	s_addc_u32 s23, s13, 0
	s_waitcnt lgkmcnt(0)
	s_add_u32 s24, s2, 8
	v_mov_b64_e32 v[4:5], 0
	s_addc_u32 s25, s3, 0
	s_mov_b64 s[26:27], 1
	v_mov_b64_e32 v[118:119], v[4:5]
.LBB0_2:                                ; =>This Inner Loop Header: Depth=1
	s_load_dwordx2 s[28:29], s[24:25], 0x0
                                        ; implicit-def: $vgpr120_vgpr121
	s_waitcnt lgkmcnt(0)
	v_or_b32_e32 v3, s29, v7
	v_cmp_ne_u64_e32 vcc, 0, v[2:3]
	s_and_saveexec_b64 s[2:3], vcc
	s_xor_b64 s[30:31], exec, s[2:3]
	s_cbranch_execz .LBB0_4
; %bb.3:                                ;   in Loop: Header=BB0_2 Depth=1
	v_cvt_f32_u32_e32 v1, s28
	v_cvt_f32_u32_e32 v3, s29
	s_sub_u32 s2, 0, s28
	s_subb_u32 s3, 0, s29
	v_fmac_f32_e32 v1, 0x4f800000, v3
	v_rcp_f32_e32 v1, v1
	s_nop 0
	v_mul_f32_e32 v1, 0x5f7ffffc, v1
	v_mul_f32_e32 v3, 0x2f800000, v1
	v_trunc_f32_e32 v3, v3
	v_fmac_f32_e32 v1, 0xcf800000, v3
	v_cvt_u32_f32_e32 v3, v3
	v_cvt_u32_f32_e32 v1, v1
	v_mul_lo_u32 v8, s2, v3
	v_mul_hi_u32 v10, s2, v1
	v_mul_lo_u32 v9, s3, v1
	v_add_u32_e32 v10, v10, v8
	v_mul_lo_u32 v12, s2, v1
	v_add_u32_e32 v13, v10, v9
	v_mul_hi_u32 v8, v1, v12
	v_mul_hi_u32 v11, v1, v13
	v_mul_lo_u32 v10, v1, v13
	v_mov_b32_e32 v9, v2
	v_lshl_add_u64 v[8:9], v[8:9], 0, v[10:11]
	v_mul_hi_u32 v11, v3, v12
	v_mul_lo_u32 v12, v3, v12
	v_add_co_u32_e32 v8, vcc, v8, v12
	v_mul_hi_u32 v10, v3, v13
	s_nop 0
	v_addc_co_u32_e32 v8, vcc, v9, v11, vcc
	v_mov_b32_e32 v9, v2
	s_nop 0
	v_addc_co_u32_e32 v11, vcc, 0, v10, vcc
	v_mul_lo_u32 v10, v3, v13
	v_lshl_add_u64 v[8:9], v[8:9], 0, v[10:11]
	v_add_co_u32_e32 v1, vcc, v1, v8
	v_mul_lo_u32 v10, s2, v1
	s_nop 0
	v_addc_co_u32_e32 v3, vcc, v3, v9, vcc
	v_mul_lo_u32 v8, s2, v3
	v_mul_hi_u32 v9, s2, v1
	v_add_u32_e32 v8, v9, v8
	v_mul_lo_u32 v9, s3, v1
	v_add_u32_e32 v12, v8, v9
	v_mul_hi_u32 v14, v3, v10
	v_mul_lo_u32 v15, v3, v10
	v_mul_hi_u32 v9, v1, v12
	v_mul_lo_u32 v8, v1, v12
	v_mul_hi_u32 v10, v1, v10
	v_mov_b32_e32 v11, v2
	v_lshl_add_u64 v[8:9], v[10:11], 0, v[8:9]
	v_add_co_u32_e32 v8, vcc, v8, v15
	v_mul_hi_u32 v13, v3, v12
	s_nop 0
	v_addc_co_u32_e32 v8, vcc, v9, v14, vcc
	v_mul_lo_u32 v10, v3, v12
	s_nop 0
	v_addc_co_u32_e32 v11, vcc, 0, v13, vcc
	v_mov_b32_e32 v9, v2
	v_lshl_add_u64 v[8:9], v[8:9], 0, v[10:11]
	v_add_co_u32_e32 v1, vcc, v1, v8
	v_mul_hi_u32 v10, v6, v1
	s_nop 0
	v_addc_co_u32_e32 v3, vcc, v3, v9, vcc
	v_mad_u64_u32 v[8:9], s[2:3], v6, v3, 0
	v_mov_b32_e32 v11, v2
	v_lshl_add_u64 v[8:9], v[10:11], 0, v[8:9]
	v_mad_u64_u32 v[12:13], s[2:3], v7, v1, 0
	v_add_co_u32_e32 v1, vcc, v8, v12
	v_mad_u64_u32 v[10:11], s[2:3], v7, v3, 0
	s_nop 0
	v_addc_co_u32_e32 v8, vcc, v9, v13, vcc
	v_mov_b32_e32 v9, v2
	s_nop 0
	v_addc_co_u32_e32 v11, vcc, 0, v11, vcc
	v_lshl_add_u64 v[8:9], v[8:9], 0, v[10:11]
	v_mul_lo_u32 v1, s29, v8
	v_mul_lo_u32 v3, s28, v9
	v_mad_u64_u32 v[10:11], s[2:3], s28, v8, 0
	v_add3_u32 v1, v11, v3, v1
	v_sub_u32_e32 v3, v7, v1
	v_mov_b32_e32 v11, s29
	v_sub_co_u32_e32 v14, vcc, v6, v10
	v_lshl_add_u64 v[12:13], v[8:9], 0, 1
	s_nop 0
	v_subb_co_u32_e64 v3, s[2:3], v3, v11, vcc
	v_subrev_co_u32_e64 v10, s[2:3], s28, v14
	v_subb_co_u32_e32 v1, vcc, v7, v1, vcc
	s_nop 0
	v_subbrev_co_u32_e64 v3, s[2:3], 0, v3, s[2:3]
	v_cmp_le_u32_e64 s[2:3], s29, v3
	v_cmp_le_u32_e32 vcc, s29, v1
	s_nop 0
	v_cndmask_b32_e64 v11, 0, -1, s[2:3]
	v_cmp_le_u32_e64 s[2:3], s28, v10
	s_nop 1
	v_cndmask_b32_e64 v10, 0, -1, s[2:3]
	v_cmp_eq_u32_e64 s[2:3], s29, v3
	s_nop 1
	v_cndmask_b32_e64 v3, v11, v10, s[2:3]
	v_lshl_add_u64 v[10:11], v[8:9], 0, 2
	v_cmp_ne_u32_e64 s[2:3], 0, v3
	s_nop 1
	v_cndmask_b32_e64 v3, v13, v11, s[2:3]
	v_cndmask_b32_e64 v11, 0, -1, vcc
	v_cmp_le_u32_e32 vcc, s28, v14
	s_nop 1
	v_cndmask_b32_e64 v13, 0, -1, vcc
	v_cmp_eq_u32_e32 vcc, s29, v1
	s_nop 1
	v_cndmask_b32_e32 v1, v11, v13, vcc
	v_cmp_ne_u32_e32 vcc, 0, v1
	v_cndmask_b32_e64 v1, v12, v10, s[2:3]
	s_nop 0
	v_cndmask_b32_e32 v121, v9, v3, vcc
	v_cndmask_b32_e32 v120, v8, v1, vcc
.LBB0_4:                                ;   in Loop: Header=BB0_2 Depth=1
	s_andn2_saveexec_b64 s[2:3], s[30:31]
	s_cbranch_execz .LBB0_6
; %bb.5:                                ;   in Loop: Header=BB0_2 Depth=1
	v_cvt_f32_u32_e32 v1, s28
	s_sub_i32 s30, 0, s28
	v_mov_b32_e32 v121, v2
	v_rcp_iflag_f32_e32 v1, v1
	s_nop 0
	v_mul_f32_e32 v1, 0x4f7ffffe, v1
	v_cvt_u32_f32_e32 v1, v1
	v_mul_lo_u32 v3, s30, v1
	v_mul_hi_u32 v3, v1, v3
	v_add_u32_e32 v1, v1, v3
	v_mul_hi_u32 v1, v6, v1
	v_mul_lo_u32 v3, v1, s28
	v_sub_u32_e32 v3, v6, v3
	v_add_u32_e32 v8, 1, v1
	v_subrev_u32_e32 v9, s28, v3
	v_cmp_le_u32_e32 vcc, s28, v3
	s_nop 1
	v_cndmask_b32_e32 v3, v3, v9, vcc
	v_cndmask_b32_e32 v1, v1, v8, vcc
	v_add_u32_e32 v8, 1, v1
	v_cmp_le_u32_e32 vcc, s28, v3
	s_nop 1
	v_cndmask_b32_e32 v120, v1, v8, vcc
.LBB0_6:                                ;   in Loop: Header=BB0_2 Depth=1
	s_or_b64 exec, exec, s[2:3]
	v_mad_u64_u32 v[8:9], s[2:3], v120, s28, 0
	s_load_dwordx2 s[2:3], s[22:23], 0x0
	v_mul_lo_u32 v1, v121, s28
	v_mul_lo_u32 v3, v120, s29
	s_load_dwordx2 s[28:29], s[20:21], 0x0
	s_add_u32 s26, s26, 1
	v_add3_u32 v1, v9, v3, v1
	v_sub_co_u32_e32 v3, vcc, v6, v8
	s_addc_u32 s27, s27, 0
	s_nop 0
	v_subb_co_u32_e32 v1, vcc, v7, v1, vcc
	s_add_u32 s20, s20, 8
	s_waitcnt lgkmcnt(0)
	v_mul_lo_u32 v6, s2, v1
	v_mul_lo_u32 v7, s3, v3
	v_mad_u64_u32 v[4:5], s[2:3], s2, v3, v[4:5]
	s_addc_u32 s21, s21, 0
	v_add3_u32 v5, v7, v5, v6
	v_mul_lo_u32 v1, s28, v1
	v_mul_lo_u32 v6, s29, v3
	v_mad_u64_u32 v[118:119], s[2:3], s28, v3, v[118:119]
	s_add_u32 s22, s22, 8
	v_add3_u32 v119, v6, v119, v1
	s_addc_u32 s23, s23, 0
	v_mov_b64_e32 v[6:7], s[10:11]
	s_add_u32 s24, s24, 8
	v_cmp_ge_u64_e32 vcc, s[26:27], v[6:7]
	s_addc_u32 s25, s25, 0
	s_cbranch_vccnz .LBB0_9
; %bb.7:                                ;   in Loop: Header=BB0_2 Depth=1
	v_mov_b64_e32 v[6:7], v[120:121]
	s_branch .LBB0_2
.LBB0_8:
	v_mov_b64_e32 v[118:119], v[4:5]
	v_mov_b64_e32 v[120:121], v[6:7]
.LBB0_9:
	s_load_dwordx2 s[0:1], s[0:1], 0x28
	s_lshl_b64 s[10:11], s[10:11], 3
	s_add_u32 s2, s14, s10
	s_addc_u32 s3, s15, s11
                                        ; implicit-def: $vgpr116
                                        ; implicit-def: $vgpr132
                                        ; implicit-def: $vgpr134
                                        ; implicit-def: $vgpr136
                                        ; implicit-def: $vgpr138
                                        ; implicit-def: $vgpr142
                                        ; implicit-def: $vgpr122
                                        ; implicit-def: $vgpr124
                                        ; implicit-def: $vgpr126
                                        ; implicit-def: $vgpr128
                                        ; implicit-def: $vgpr130
                                        ; implicit-def: $vgpr140
	s_waitcnt lgkmcnt(0)
	v_cmp_gt_u64_e32 vcc, s[0:1], v[120:121]
	v_cmp_le_u64_e64 s[0:1], s[0:1], v[120:121]
	s_and_saveexec_b64 s[14:15], s[0:1]
	s_xor_b64 s[0:1], exec, s[14:15]
	s_cbranch_execz .LBB0_11
; %bb.10:
	s_mov_b32 s14, 0x4ec4ec5
	v_mul_hi_u32 v1, v0, s14
	v_mul_u32_u24_e32 v1, 52, v1
	v_sub_u32_e32 v116, v0, v1
	v_add_u32_e32 v132, 52, v116
	v_add_u32_e32 v134, 0x68, v116
	;; [unrolled: 1-line block ×11, first 2 shown]
                                        ; implicit-def: $vgpr0
                                        ; implicit-def: $vgpr4_vgpr5
.LBB0_11:
	s_or_saveexec_b64 s[0:1], s[0:1]
                                        ; implicit-def: $vgpr78_vgpr79
                                        ; implicit-def: $vgpr30_vgpr31
                                        ; implicit-def: $vgpr46_vgpr47
                                        ; implicit-def: $vgpr42_vgpr43
                                        ; implicit-def: $vgpr54_vgpr55
                                        ; implicit-def: $vgpr50_vgpr51
                                        ; implicit-def: $vgpr62_vgpr63
                                        ; implicit-def: $vgpr58_vgpr59
                                        ; implicit-def: $vgpr74_vgpr75
                                        ; implicit-def: $vgpr2_vgpr3
                                        ; implicit-def: $vgpr10_vgpr11
                                        ; implicit-def: $vgpr6_vgpr7
                                        ; implicit-def: $vgpr18_vgpr19
                                        ; implicit-def: $vgpr14_vgpr15
                                        ; implicit-def: $vgpr26_vgpr27
                                        ; implicit-def: $vgpr22_vgpr23
                                        ; implicit-def: $vgpr38_vgpr39
                                        ; implicit-def: $vgpr34_vgpr35
                                        ; implicit-def: $vgpr70_vgpr71
                                        ; implicit-def: $vgpr66_vgpr67
                                        ; implicit-def: $vgpr86_vgpr87
                                        ; implicit-def: $vgpr82_vgpr83
                                        ; implicit-def: $vgpr94_vgpr95
                                        ; implicit-def: $vgpr90_vgpr91
	s_xor_b64 exec, exec, s[0:1]
	s_cbranch_execz .LBB0_13
; %bb.12:
	s_add_u32 s10, s12, s10
	s_addc_u32 s11, s13, s11
	s_load_dwordx2 s[10:11], s[10:11], 0x0
	s_mov_b32 s12, 0x4ec4ec5
	s_waitcnt lgkmcnt(0)
	v_mul_lo_u32 v1, s11, v120
	v_mul_lo_u32 v2, s10, v121
	v_mad_u64_u32 v[6:7], s[10:11], s10, v120, 0
	v_add3_u32 v7, v7, v2, v1
	v_mul_hi_u32 v1, v0, s12
	v_mul_u32_u24_e32 v1, 52, v1
	v_sub_u32_e32 v116, v0, v1
	v_mad_u64_u32 v[2:3], s[10:11], s18, v116, 0
	v_mov_b32_e32 v0, v3
	v_mad_u64_u32 v[0:1], s[10:11], s19, v116, v[0:1]
	v_mov_b32_e32 v3, v0
	v_lshl_add_u64 v[0:1], v[6:7], 4, s[4:5]
	v_add_u32_e32 v7, 0x270, v116
	v_lshl_add_u64 v[0:1], v[4:5], 4, v[0:1]
	v_mad_u64_u32 v[4:5], s[4:5], s18, v7, 0
	v_mov_b32_e32 v6, v5
	v_mad_u64_u32 v[6:7], s[4:5], s19, v7, v[6:7]
	v_add_u32_e32 v132, 52, v116
	v_mov_b32_e32 v5, v6
	v_mad_u64_u32 v[6:7], s[4:5], s18, v132, 0
	v_mov_b32_e32 v8, v7
	v_mad_u64_u32 v[8:9], s[4:5], s19, v132, v[8:9]
	v_add_u32_e32 v11, 0x2a4, v116
	v_mov_b32_e32 v7, v8
	;; [unrolled: 5-line block ×7, first 2 shown]
	v_mad_u64_u32 v[18:19], s[4:5], s18, v138, 0
	v_mov_b32_e32 v20, v19
	v_mad_u64_u32 v[20:21], s[4:5], s19, v138, v[20:21]
	v_or_b32_e32 v23, 0x340, v116
	v_mov_b32_e32 v19, v20
	v_mad_u64_u32 v[20:21], s[4:5], s18, v23, 0
	v_mov_b32_e32 v22, v21
	v_mad_u64_u32 v[22:23], s[4:5], s19, v23, v[22:23]
	v_add_u32_e32 v142, 0x104, v116
	v_mov_b32_e32 v21, v22
	v_mad_u64_u32 v[22:23], s[4:5], s18, v142, 0
	v_mov_b32_e32 v24, v23
	v_mad_u64_u32 v[24:25], s[4:5], s19, v142, v[24:25]
	v_add_u32_e32 v27, 0x374, v116
	;; [unrolled: 5-line block ×14, first 2 shown]
	v_mov_b32_e32 v47, v48
	v_mad_u64_u32 v[48:49], s[4:5], s18, v51, 0
	v_mov_b32_e32 v50, v49
	v_mad_u64_u32 v[50:51], s[4:5], s19, v51, v[50:51]
	v_mov_b32_e32 v49, v50
	v_lshl_add_u64 v[50:51], v[2:3], 4, v[0:1]
	v_lshl_add_u64 v[52:53], v[4:5], 4, v[0:1]
	;; [unrolled: 1-line block ×24, first 2 shown]
	global_load_dwordx4 v[88:91], v[50:51], off
	global_load_dwordx4 v[92:95], v[52:53], off
	;; [unrolled: 1-line block ×15, first 2 shown]
                                        ; kill: killed $vgpr30_vgpr31
                                        ; kill: killed $vgpr98_vgpr99
                                        ; kill: killed $vgpr78_vgpr79
                                        ; kill: killed $vgpr74_vgpr75
                                        ; kill: killed $vgpr62_vgpr63
                                        ; kill: killed $vgpr58_vgpr59
                                        ; kill: killed $vgpr54_vgpr55
                                        ; kill: killed $vgpr52_vgpr53
                                        ; kill: killed $vgpr50_vgpr51
                                        ; kill: killed $vgpr28_vgpr29
                                        ; kill: killed $vgpr96_vgpr97
                                        ; kill: killed $vgpr76_vgpr77
                                        ; kill: killed $vgpr72_vgpr73
                                        ; kill: killed $vgpr60_vgpr61
                                        ; kill: killed $vgpr56_vgpr57
	global_load_dwordx4 v[72:75], v[100:101], off
	global_load_dwordx4 v[56:59], v[102:103], off
	global_load_dwordx4 v[60:63], v[104:105], off
	global_load_dwordx4 v[48:51], v[106:107], off
	global_load_dwordx4 v[52:55], v[108:109], off
	global_load_dwordx4 v[40:43], v[110:111], off
	global_load_dwordx4 v[44:47], v[112:113], off
	global_load_dwordx4 v[28:31], v[114:115], off
                                        ; kill: killed $vgpr110_vgpr111
                                        ; kill: killed $vgpr106_vgpr107
                                        ; kill: killed $vgpr102_vgpr103
                                        ; kill: killed $vgpr112_vgpr113
                                        ; kill: killed $vgpr108_vgpr109
                                        ; kill: killed $vgpr104_vgpr105
                                        ; kill: killed $vgpr100_vgpr101
                                        ; kill: killed $vgpr114_vgpr115
	global_load_dwordx4 v[76:79], v[144:145], off
.LBB0_13:
	s_or_b64 exec, exec, s[0:1]
	s_waitcnt vmcnt(22)
	v_add_f64 v[114:115], v[90:91], -v[94:95]
	v_add_f64 v[96:97], v[88:89], -v[92:93]
	v_fma_f64 v[112:113], v[90:91], 2.0, -v[114:115]
	s_waitcnt vmcnt(20)
	v_add_f64 v[90:91], v[80:81], -v[84:85]
	v_fma_f64 v[94:95], v[88:89], 2.0, -v[96:97]
	v_lshl_add_u32 v146, v116, 4, 0
	v_fma_f64 v[88:89], v[80:81], 2.0, -v[90:91]
	v_lshl_add_u32 v80, v132, 4, 0
	ds_write_b128 v146, v[94:97]
	ds_write_b128 v80, v[88:91]
	s_waitcnt vmcnt(18)
	v_add_f64 v[90:91], v[64:65], -v[68:69]
	v_fma_f64 v[88:89], v[64:65], 2.0, -v[90:91]
	v_lshl_add_u32 v64, v134, 4, 0
	ds_write_b128 v64, v[88:91]
	s_waitcnt vmcnt(16)
	v_add_f64 v[90:91], v[32:33], -v[36:37]
	v_fma_f64 v[88:89], v[32:33], 2.0, -v[90:91]
	v_lshl_add_u32 v117, v136, 4, 0
	;; [unrolled: 5-line block ×9, first 2 shown]
	ds_write_b128 v135, v[88:91]
	s_waitcnt vmcnt(0)
	v_add_f64 v[90:91], v[28:29], -v[76:77]
	v_add_f64 v[84:85], v[82:83], -v[86:87]
	;; [unrolled: 1-line block ×3, first 2 shown]
	v_fma_f64 v[88:89], v[28:29], 2.0, -v[90:91]
	v_lshl_add_u32 v137, v140, 4, 0
	v_lshl_add_u32 v172, v116, 3, 0
	v_lshlrev_b32_e32 v139, 3, v136
	v_lshlrev_b32_e32 v141, 3, v138
	v_lshlrev_b32_e32 v143, 3, v142
	v_lshlrev_b32_e32 v158, 3, v122
	v_lshlrev_b32_e32 v159, 3, v124
	v_lshlrev_b32_e32 v160, 3, v126
	v_lshlrev_b32_e32 v161, 3, v128
	v_lshlrev_b32_e32 v162, 3, v130
	v_lshlrev_b32_e32 v163, 3, v140
	v_fma_f64 v[82:83], v[82:83], 2.0, -v[84:85]
	v_fma_f64 v[66:67], v[66:67], 2.0, -v[68:69]
	v_add_f64 v[36:37], v[34:35], -v[38:39]
	v_add_f64 v[74:75], v[2:3], -v[74:75]
	;; [unrolled: 1-line block ×3, first 2 shown]
	ds_write_b128 v137, v[88:91]
	s_load_dwordx2 s[2:3], s[2:3], 0x0
	s_waitcnt lgkmcnt(0)
	; wave barrier
	s_waitcnt lgkmcnt(0)
	v_add_u32_e32 v164, 0x1000, v172
	v_lshl_add_u32 v173, v132, 3, 0
	v_lshl_add_u32 v174, v134, 3, 0
	v_add_u32_e32 v28, 0x1400, v172
	v_sub_u32_e32 v56, v117, v139
	v_sub_u32_e32 v57, v123, v141
	v_add_u32_e32 v165, 0x1800, v172
	v_sub_u32_e32 v60, v125, v143
	v_sub_u32_e32 v61, v127, v158
	;; [unrolled: 1-line block ×4, first 2 shown]
	v_add_u32_e32 v29, 0x2000, v172
	v_sub_u32_e32 v150, v133, v161
	v_sub_u32_e32 v151, v135, v162
	;; [unrolled: 1-line block ×3, first 2 shown]
	ds_read_b64 v[48:49], v172
	ds_read_b64 v[144:145], v173
	;; [unrolled: 1-line block ×12, first 2 shown]
	ds_read2_b64 v[108:111], v164 offset0:112 offset1:164
	ds_read2_b64 v[104:107], v28 offset0:88 offset1:140
	;; [unrolled: 1-line block ×6, first 2 shown]
	s_waitcnt lgkmcnt(0)
	; wave barrier
	s_waitcnt lgkmcnt(0)
	ds_write_b128 v146, v[112:115]
	ds_write_b128 v80, v[82:85]
	;; [unrolled: 1-line block ×3, first 2 shown]
	v_fma_f64 v[34:35], v[34:35], 2.0, -v[36:37]
	v_add_f64 v[40:41], v[22:23], -v[26:27]
	v_add_f64 v[66:67], v[14:15], -v[18:19]
	;; [unrolled: 1-line block ×3, first 2 shown]
	v_fma_f64 v[72:73], v[2:3], 2.0, -v[74:75]
	v_add_f64 v[2:3], v[58:59], -v[62:63]
	v_add_f64 v[52:53], v[50:51], -v[54:55]
	;; [unrolled: 1-line block ×3, first 2 shown]
	v_fma_f64 v[30:31], v[30:31], 2.0, -v[32:33]
	v_fma_f64 v[38:39], v[22:23], 2.0, -v[40:41]
	;; [unrolled: 1-line block ×7, first 2 shown]
	ds_write_b128 v117, v[34:37]
	ds_write_b128 v123, v[38:41]
	;; [unrolled: 1-line block ×9, first 2 shown]
	v_and_b32_e32 v30, 1, v116
	v_lshlrev_b32_e32 v0, 4, v30
	s_waitcnt lgkmcnt(0)
	; wave barrier
	s_waitcnt lgkmcnt(0)
	global_load_dwordx4 v[0:3], v0, s[8:9]
	ds_read2_b64 v[52:55], v164 offset0:112 offset1:164
	ds_read_b64 v[82:83], v57
	ds_read_b64 v[80:81], v60
	;; [unrolled: 1-line block ×4, first 2 shown]
	s_movk_i32 s0, 0x7c
	v_lshlrev_b32_e32 v114, 1, v116
	v_and_or_b32 v14, v114, s0, v30
	v_lshl_add_u32 v113, v14, 3, 0
	ds_read_b64 v[148:149], v147
	ds_read_b64 v[146:147], v150
	;; [unrolled: 1-line block ×8, first 2 shown]
	ds_read2_b64 v[72:75], v28 offset0:88 offset1:140
	ds_read2_b64 v[68:71], v165 offset0:64 offset1:116
	;; [unrolled: 1-line block ×5, first 2 shown]
	s_waitcnt lgkmcnt(0)
	; wave barrier
	s_waitcnt lgkmcnt(0)
	s_movk_i32 s0, 0xfc
	v_lshlrev_b32_e32 v112, 1, v132
	v_and_or_b32 v14, v112, s0, v30
	v_lshl_add_u32 v115, v14, 3, 0
	s_movk_i32 s0, 0x1fc
	v_lshlrev_b32_e32 v14, 1, v134
	v_and_or_b32 v14, v14, s0, v30
	s_movk_i32 s1, 0x2fc
	v_lshlrev_b32_e32 v31, 1, v140
	v_add_u32_e32 v182, 0x400, v172
	v_add_u32_e32 v183, 0x800, v172
	;; [unrolled: 1-line block ×3, first 2 shown]
	s_waitcnt vmcnt(0)
	v_mul_f64 v[6:7], v[52:53], v[2:3]
	v_fmac_f64_e32 v[6:7], v[108:109], v[0:1]
	v_add_f64 v[6:7], v[48:49], -v[6:7]
	v_fma_f64 v[10:11], v[48:49], 2.0, -v[6:7]
	ds_write2_b64 v113, v[10:11], v[6:7] offset1:2
	v_mul_f64 v[6:7], v[54:55], v[2:3]
	v_fmac_f64_e32 v[6:7], v[110:111], v[0:1]
	v_add_f64 v[6:7], v[144:145], -v[6:7]
	v_fma_f64 v[10:11], v[144:145], 2.0, -v[6:7]
	ds_write2_b64 v115, v[10:11], v[6:7] offset1:2
	v_mul_f64 v[6:7], v[72:73], v[2:3]
	v_fmac_f64_e32 v[6:7], v[104:105], v[0:1]
	v_add_f64 v[6:7], v[166:167], -v[6:7]
	v_fma_f64 v[10:11], v[166:167], 2.0, -v[6:7]
	v_lshl_add_u32 v166, v14, 3, 0
	ds_write2_b64 v166, v[10:11], v[6:7] offset1:2
	v_mul_f64 v[6:7], v[74:75], v[2:3]
	v_fmac_f64_e32 v[6:7], v[106:107], v[0:1]
	v_lshlrev_b32_e32 v14, 1, v136
	v_add_f64 v[6:7], v[168:169], -v[6:7]
	v_and_or_b32 v14, v14, s0, v30
	v_fma_f64 v[10:11], v[168:169], 2.0, -v[6:7]
	v_lshl_add_u32 v167, v14, 3, 0
	ds_write2_b64 v167, v[10:11], v[6:7] offset1:2
	v_mul_f64 v[6:7], v[68:69], v[2:3]
	v_fmac_f64_e32 v[6:7], v[100:101], v[0:1]
	s_movk_i32 s0, 0x3fc
	v_lshlrev_b32_e32 v14, 1, v138
	v_add_f64 v[6:7], v[170:171], -v[6:7]
	v_and_or_b32 v14, v14, s0, v30
	v_fma_f64 v[10:11], v[170:171], 2.0, -v[6:7]
	v_lshl_add_u32 v170, v14, 3, 0
	ds_write2_b64 v170, v[10:11], v[6:7] offset1:2
	v_mul_f64 v[6:7], v[70:71], v[2:3]
	v_fmac_f64_e32 v[6:7], v[102:103], v[0:1]
	v_lshlrev_b32_e32 v14, 1, v142
	v_add_f64 v[6:7], v[176:177], -v[6:7]
	v_and_or_b32 v14, v14, s1, v30
	v_fma_f64 v[10:11], v[176:177], 2.0, -v[6:7]
	v_lshl_add_u32 v171, v14, 3, 0
	ds_write2_b64 v171, v[10:11], v[6:7] offset1:2
	v_mul_f64 v[6:7], v[66:67], v[2:3]
	v_fmac_f64_e32 v[6:7], v[98:99], v[0:1]
	v_add_f64 v[22:23], v[20:21], -v[6:7]
	v_mul_f64 v[6:7], v[60:61], v[2:3]
	v_fmac_f64_e32 v[6:7], v[92:93], v[0:1]
	v_add_f64 v[26:27], v[24:25], -v[6:7]
	;; [unrolled: 3-line block ×6, first 2 shown]
	v_lshlrev_b32_e32 v6, 1, v122
	v_and_or_b32 v6, v6, s1, v30
	v_fma_f64 v[4:5], v[4:5], 2.0, -v[144:145]
	v_lshl_add_u32 v175, v6, 3, 0
	ds_write2_b64 v175, v[4:5], v[144:145] offset1:2
	v_lshlrev_b32_e32 v4, 1, v124
	v_lshlrev_b32_e32 v5, 1, v126
	v_and_or_b32 v4, v4, s0, v30
	v_and_or_b32 v5, v5, s0, v30
	s_movk_i32 s0, 0x7fc
	v_lshlrev_b32_e32 v6, 1, v128
	v_and_or_b32 v6, v6, s0, v30
	s_movk_i32 s0, 0x4fc
	v_lshlrev_b32_e32 v7, 1, v130
	v_and_or_b32 v7, v7, s0, v30
	v_and_or_b32 v30, v31, s0, v30
	v_fma_f64 v[20:21], v[20:21], 2.0, -v[22:23]
	v_fma_f64 v[24:25], v[24:25], 2.0, -v[26:27]
	;; [unrolled: 1-line block ×5, first 2 shown]
	v_lshl_add_u32 v176, v4, 3, 0
	v_lshl_add_u32 v177, v5, 3, 0
	;; [unrolled: 1-line block ×5, first 2 shown]
	ds_write2_b64 v176, v[20:21], v[22:23] offset1:2
	ds_write2_b64 v177, v[24:25], v[26:27] offset1:2
	;; [unrolled: 1-line block ×5, first 2 shown]
	s_waitcnt lgkmcnt(0)
	; wave barrier
	s_waitcnt lgkmcnt(0)
	ds_read_b64 v[168:169], v172 offset:9216
	ds_read2_b64 v[4:7], v172 offset1:96
	ds_read2_b64 v[48:51], v182 offset0:64 offset1:160
	ds_read2_b64 v[44:47], v183 offset0:128 offset1:224
	ds_read2_b64 v[40:43], v164 offset0:64 offset1:160
	ds_read2_b64 v[36:39], v165 offset1:96
	ds_read2_b64 v[32:35], v181 offset0:64 offset1:160
	v_cmp_gt_u32_e64 s[0:1], 44, v116
                                        ; implicit-def: $vgpr30_vgpr31
	s_and_saveexec_b64 s[4:5], s[0:1]
	s_cbranch_execz .LBB0_15
; %bb.14:
	ds_read_b64 v[144:145], v173
	ds_read2_b64 v[20:23], v172 offset0:148 offset1:244
	ds_read2_b64 v[24:27], v183 offset0:84 offset1:180
	;; [unrolled: 1-line block ×6, first 2 shown]
.LBB0_15:
	s_or_b64 exec, exec, s[4:5]
	v_mul_f64 v[108:109], v[108:109], v[2:3]
	v_mul_f64 v[100:101], v[100:101], v[2:3]
	v_fma_f64 v[52:53], v[52:53], v[0:1], -v[108:109]
	v_mul_f64 v[108:109], v[110:111], v[2:3]
	v_mul_f64 v[104:105], v[104:105], v[2:3]
	v_fma_f64 v[68:69], v[68:69], v[0:1], -v[100:101]
	v_mul_f64 v[100:101], v[102:103], v[2:3]
	v_mul_f64 v[96:97], v[96:97], v[2:3]
	v_mul_f64 v[92:93], v[92:93], v[2:3]
	v_fma_f64 v[54:55], v[54:55], v[0:1], -v[108:109]
	v_fma_f64 v[72:73], v[72:73], v[0:1], -v[104:105]
	v_mul_f64 v[104:105], v[106:107], v[2:3]
	v_fma_f64 v[70:71], v[70:71], v[0:1], -v[100:101]
	v_fma_f64 v[64:65], v[64:65], v[0:1], -v[96:97]
	v_mul_f64 v[96:97], v[98:99], v[2:3]
	v_fma_f64 v[60:61], v[60:61], v[0:1], -v[92:93]
	v_mul_f64 v[92:93], v[94:95], v[2:3]
	v_mul_f64 v[88:89], v[88:89], v[2:3]
	;; [unrolled: 1-line block ×3, first 2 shown]
	v_fma_f64 v[74:75], v[74:75], v[0:1], -v[104:105]
	v_fma_f64 v[66:67], v[66:67], v[0:1], -v[96:97]
	;; [unrolled: 1-line block ×5, first 2 shown]
	v_add_f64 v[2:3], v[156:157], -v[52:53]
	v_add_f64 v[90:91], v[152:153], -v[54:55]
	;; [unrolled: 1-line block ×6, first 2 shown]
	v_fma_f64 v[88:89], v[156:157], 2.0, -v[2:3]
	v_fma_f64 v[92:93], v[152:153], 2.0, -v[90:91]
	;; [unrolled: 1-line block ×3, first 2 shown]
	v_add_f64 v[74:75], v[150:151], -v[74:75]
	v_fma_f64 v[82:83], v[82:83], 2.0, -v[100:101]
	v_fma_f64 v[80:81], v[80:81], 2.0, -v[102:103]
	;; [unrolled: 1-line block ×3, first 2 shown]
	v_add_f64 v[66:67], v[76:77], -v[66:67]
	v_add_f64 v[70:71], v[148:149], -v[60:61]
	;; [unrolled: 1-line block ×5, first 2 shown]
	v_fma_f64 v[98:99], v[150:151], 2.0, -v[74:75]
	v_fma_f64 v[64:65], v[76:77], 2.0, -v[66:67]
	;; [unrolled: 1-line block ×6, first 2 shown]
	s_waitcnt lgkmcnt(0)
	; wave barrier
	s_waitcnt lgkmcnt(0)
	ds_write2_b64 v113, v[88:89], v[2:3] offset1:2
	ds_write2_b64 v115, v[92:93], v[90:91] offset1:2
	;; [unrolled: 1-line block ×12, first 2 shown]
	s_waitcnt lgkmcnt(0)
	; wave barrier
	s_waitcnt lgkmcnt(0)
	ds_read2_b64 v[0:3], v172 offset1:96
	ds_read2_b64 v[92:95], v182 offset0:64 offset1:160
	ds_read2_b64 v[88:91], v183 offset0:128 offset1:224
	ds_read2_b64 v[84:87], v164 offset0:64 offset1:160
	ds_read2_b64 v[80:83], v165 offset1:96
	ds_read2_b64 v[76:79], v181 offset0:64 offset1:160
	ds_read_b64 v[170:171], v172 offset:9216
                                        ; implicit-def: $vgpr74_vgpr75
	s_and_saveexec_b64 s[4:5], s[0:1]
	s_cbranch_execz .LBB0_17
; %bb.16:
	v_add_u32_e32 v52, 0x800, v172
	ds_read_b64 v[96:97], v173
	ds_read2_b64 v[64:67], v172 offset0:148 offset1:244
	ds_read2_b64 v[68:71], v52 offset0:84 offset1:180
	v_add_u32_e32 v52, 0x1000, v172
	ds_read2_b64 v[60:63], v52 offset0:20 offset1:116
	v_add_u32_e32 v52, 0x1400, v172
	;; [unrolled: 2-line block ×3, first 2 shown]
	v_add_u32_e32 v72, 0x2000, v172
	ds_read2_b64 v[52:55], v52 offset0:148 offset1:244
	ds_read2_b64 v[72:75], v72 offset0:84 offset1:180
.LBB0_17:
	s_or_b64 exec, exec, s[4:5]
	v_and_b32_e32 v113, 3, v116
	v_mul_u32_u24_e32 v98, 12, v113
	v_lshlrev_b32_e32 v98, 4, v98
	global_load_dwordx4 v[182:185], v98, s[8:9] offset:32
	global_load_dwordx4 v[186:189], v98, s[8:9] offset:48
	;; [unrolled: 1-line block ×12, first 2 shown]
	v_sub_u32_e32 v180, 0, v139
	v_sub_u32_e32 v178, 0, v143
	;; [unrolled: 1-line block ×8, first 2 shown]
	s_mov_b32 s4, 0x4267c47c
	s_mov_b32 s10, 0x42a4c3d2
	;; [unrolled: 1-line block ×36, first 2 shown]
	v_sub_u32_e32 v179, 0, v141
	s_waitcnt lgkmcnt(0)
	; wave barrier
	s_waitcnt vmcnt(11) lgkmcnt(0)
	v_mul_f64 v[158:159], v[2:3], v[184:185]
	v_mul_f64 v[162:163], v[6:7], v[184:185]
	s_waitcnt vmcnt(10)
	v_mul_f64 v[154:155], v[92:93], v[188:189]
	s_waitcnt vmcnt(9)
	;; [unrolled: 2-line block ×3, first 2 shown]
	v_mul_f64 v[110:111], v[90:91], v[200:201]
	v_mul_f64 v[236:237], v[46:47], v[200:201]
	s_waitcnt vmcnt(5)
	v_mul_f64 v[240:241], v[42:43], v[208:209]
	s_waitcnt vmcnt(4)
	v_mul_f64 v[146:147], v[80:81], v[212:213]
	v_mul_f64 v[242:243], v[36:37], v[212:213]
	s_waitcnt vmcnt(2)
	v_mul_f64 v[156:157], v[76:77], v[220:221]
	v_mul_f64 v[246:247], v[32:33], v[220:221]
	v_fmac_f64_e32 v[156:157], v[32:33], v[218:219]
	v_mul_f64 v[32:33], v[56:57], v[208:209]
	s_waitcnt vmcnt(1)
	v_mul_f64 v[160:161], v[78:79], v[224:225]
	s_waitcnt vmcnt(0)
	v_mul_f64 v[250:251], v[168:169], v[228:229]
	v_fmac_f64_e32 v[110:111], v[46:47], v[198:199]
	v_fmac_f64_e32 v[146:147], v[36:37], v[210:211]
	v_mul_f64 v[36:37], v[60:61], v[200:201]
	v_fmac_f64_e32 v[32:33], v[12:13], v[206:207]
	v_mul_f64 v[12:13], v[12:13], v[208:209]
	v_mul_f64 v[46:47], v[52:53], v[216:217]
	;; [unrolled: 1-line block ×7, first 2 shown]
	v_fmac_f64_e32 v[158:159], v[6:7], v[182:183]
	v_fma_f64 v[166:167], v[2:3], v[182:183], -v[162:163]
	v_fma_f64 v[6:7], v[86:87], v[206:207], -v[240:241]
	v_fmac_f64_e32 v[160:161], v[34:35], v[222:223]
	v_fma_f64 v[86:87], v[170:171], v[226:227], -v[250:251]
	v_fmac_f64_e32 v[36:37], v[16:17], v[198:199]
	v_mul_f64 v[16:17], v[16:17], v[200:201]
	v_fma_f64 v[34:35], v[56:57], v[206:207], -v[12:13]
	v_mul_f64 v[12:13], v[14:15], v[212:213]
	v_fmac_f64_e32 v[46:47], v[8:9], v[214:215]
	v_mul_f64 v[8:9], v[8:9], v[216:217]
	v_mul_f64 v[230:231], v[48:49], v[188:189]
	;; [unrolled: 1-line block ×10, first 2 shown]
	v_fmac_f64_e32 v[154:155], v[48:49], v[186:187]
	v_fmac_f64_e32 v[106:107], v[40:41], v[202:203]
	;; [unrolled: 1-line block ×6, first 2 shown]
	v_fma_f64 v[38:39], v[60:61], v[198:199], -v[16:17]
	v_mul_f64 v[24:25], v[62:63], v[204:205]
	v_mul_f64 v[16:17], v[18:19], v[204:205]
	;; [unrolled: 1-line block ×3, first 2 shown]
	v_fma_f64 v[42:43], v[58:59], v[210:211], -v[12:13]
	v_fma_f64 v[48:49], v[52:53], v[214:215], -v[8:9]
	v_mul_f64 v[52:53], v[54:55], v[220:221]
	v_mul_f64 v[8:9], v[10:11], v[220:221]
	v_add_f64 v[12:13], v[166:167], -v[86:87]
	v_mul_f64 v[148:149], v[88:89], v[196:197]
	v_mul_f64 v[184:185], v[20:21], v[184:185]
	;; [unrolled: 1-line block ×3, first 2 shown]
	v_fma_f64 v[162:163], v[92:93], v[186:187], -v[230:231]
	v_fmac_f64_e32 v[152:153], v[50:51], v[190:191]
	v_fma_f64 v[78:79], v[78:79], v[222:223], -v[248:249]
	v_fmac_f64_e32 v[104:105], v[20:21], v[182:183]
	v_fmac_f64_e32 v[102:103], v[22:23], v[186:187]
	v_fma_f64 v[50:51], v[68:69], v[190:191], -v[192:193]
	v_fmac_f64_e32 v[98:99], v[26:27], v[194:195]
	v_mul_f64 v[20:21], v[26:27], v[196:197]
	v_fmac_f64_e32 v[24:25], v[18:19], v[202:203]
	v_fma_f64 v[26:27], v[62:63], v[202:203], -v[16:17]
	v_fmac_f64_e32 v[40:41], v[14:15], v[210:211]
	v_fmac_f64_e32 v[52:53], v[10:11], v[218:219]
	v_fma_f64 v[54:55], v[54:55], v[218:219], -v[8:9]
	v_mul_f64 v[56:57], v[72:73], v[224:225]
	v_mul_f64 v[8:9], v[28:29], v[224:225]
	v_add_f64 v[10:11], v[158:159], v[164:165]
	v_mul_f64 v[14:15], v[12:13], s[4:5]
	v_mul_f64 v[18:19], v[12:13], s[10:11]
	;; [unrolled: 1-line block ×7, first 2 shown]
	v_fmac_f64_e32 v[148:149], v[44:45], v[194:195]
	v_fma_f64 v[2:3], v[84:85], v[202:203], -v[238:239]
	v_fma_f64 v[84:85], v[76:77], v[218:219], -v[246:247]
	;; [unrolled: 1-line block ×5, first 2 shown]
	v_fmac_f64_e32 v[56:57], v[28:29], v[222:223]
	v_fma_f64 v[28:29], v[72:73], v[222:223], -v[8:9]
	v_mul_f64 v[58:59], v[74:75], v[228:229]
	v_mul_f64 v[8:9], v[30:31], v[228:229]
	v_fma_f64 v[16:17], s[14:15], v[10:11], v[14:15]
	v_fma_f64 v[14:15], v[10:11], s[14:15], -v[14:15]
	v_fma_f64 v[20:21], s[18:19], v[10:11], v[18:19]
	v_fma_f64 v[18:19], v[10:11], s[18:19], -v[18:19]
	;; [unrolled: 2-line block ×6, first 2 shown]
	v_add_f64 v[12:13], v[162:163], -v[78:79]
	v_fmac_f64_e32 v[58:59], v[30:31], v[226:227]
	v_fma_f64 v[30:31], v[74:75], v[226:227], -v[8:9]
	v_add_f64 v[8:9], v[4:5], v[158:159]
	v_add_f64 v[16:17], v[4:5], v[16:17]
	;; [unrolled: 1-line block ×14, first 2 shown]
	v_mul_f64 v[74:75], v[12:13], s[10:11]
	v_fma_f64 v[92:93], v[88:89], v[194:195], -v[234:235]
	v_fma_f64 v[88:89], v[90:91], v[198:199], -v[236:237]
	v_fma_f64 v[90:91], s[18:19], v[10:11], v[74:75]
	v_fma_f64 v[74:75], v[10:11], s[18:19], -v[74:75]
	v_add_f64 v[14:15], v[74:75], v[14:15]
	v_mul_f64 v[74:75], v[12:13], s[22:23]
	v_add_f64 v[16:17], v[90:91], v[16:17]
	v_fma_f64 v[90:91], s[24:25], v[10:11], v[74:75]
	v_fma_f64 v[74:75], v[10:11], s[24:25], -v[74:75]
	v_add_f64 v[18:19], v[74:75], v[18:19]
	v_mul_f64 v[74:75], v[12:13], s[30:31]
	v_add_f64 v[20:21], v[90:91], v[20:21]
	v_fma_f64 v[90:91], s[34:35], v[10:11], v[74:75]
	v_fma_f64 v[74:75], v[10:11], s[34:35], -v[74:75]
	v_add_f64 v[22:23], v[74:75], v[22:23]
	v_mul_f64 v[74:75], v[12:13], s[38:39]
	v_add_f64 v[60:61], v[90:91], v[60:61]
	v_fma_f64 v[90:91], s[28:29], v[10:11], v[74:75]
	v_fma_f64 v[74:75], v[10:11], s[28:29], -v[74:75]
	v_add_f64 v[62:63], v[74:75], v[62:63]
	v_mul_f64 v[74:75], v[12:13], s[36:37]
	v_fma_f64 v[94:95], v[94:95], v[190:191], -v[232:233]
	v_add_f64 v[66:67], v[90:91], v[66:67]
	v_fma_f64 v[90:91], s[20:21], v[10:11], v[74:75]
	v_fma_f64 v[74:75], v[10:11], s[20:21], -v[74:75]
	v_mul_f64 v[12:13], v[12:13], s[40:41]
	v_add_f64 v[68:69], v[74:75], v[68:69]
	v_fma_f64 v[74:75], s[14:15], v[10:11], v[12:13]
	v_fma_f64 v[10:11], v[10:11], s[14:15], -v[12:13]
	v_add_f64 v[12:13], v[94:95], -v[84:85]
	v_add_f64 v[72:73], v[74:75], v[72:73]
	v_add_f64 v[4:5], v[10:11], v[4:5]
	v_add_f64 v[10:11], v[152:153], v[156:157]
	v_mul_f64 v[74:75], v[12:13], s[12:13]
	v_add_f64 v[70:71], v[90:91], v[70:71]
	v_fma_f64 v[90:91], s[20:21], v[10:11], v[74:75]
	v_fma_f64 v[74:75], v[10:11], s[20:21], -v[74:75]
	v_add_f64 v[14:15], v[74:75], v[14:15]
	v_mul_f64 v[74:75], v[12:13], s[30:31]
	v_add_f64 v[16:17], v[90:91], v[16:17]
	v_fma_f64 v[90:91], s[34:35], v[10:11], v[74:75]
	v_fma_f64 v[74:75], v[10:11], s[34:35], -v[74:75]
	v_add_f64 v[18:19], v[74:75], v[18:19]
	v_mul_f64 v[74:75], v[12:13], s[42:43]
	v_add_f64 v[20:21], v[90:91], v[20:21]
	v_fma_f64 v[90:91], s[24:25], v[10:11], v[74:75]
	v_fma_f64 v[74:75], v[10:11], s[24:25], -v[74:75]
	v_add_f64 v[22:23], v[74:75], v[22:23]
	v_mul_f64 v[74:75], v[12:13], s[40:41]
	v_add_f64 v[60:61], v[90:91], v[60:61]
	v_fma_f64 v[90:91], s[14:15], v[10:11], v[74:75]
	v_fma_f64 v[74:75], v[10:11], s[14:15], -v[74:75]
	v_add_f64 v[62:63], v[74:75], v[62:63]
	v_mul_f64 v[74:75], v[12:13], s[10:11]
	v_fma_f64 v[82:83], v[82:83], v[214:215], -v[244:245]
	v_add_f64 v[66:67], v[90:91], v[66:67]
	v_fma_f64 v[90:91], s[18:19], v[10:11], v[74:75]
	v_fma_f64 v[74:75], v[10:11], s[18:19], -v[74:75]
	v_mul_f64 v[12:13], v[12:13], s[26:27]
	v_add_f64 v[68:69], v[74:75], v[68:69]
	v_fma_f64 v[74:75], s[28:29], v[10:11], v[12:13]
	v_fma_f64 v[10:11], v[10:11], s[28:29], -v[12:13]
	v_add_f64 v[12:13], v[92:93], -v[82:83]
	v_add_f64 v[72:73], v[74:75], v[72:73]
	v_add_f64 v[4:5], v[10:11], v[4:5]
	v_add_f64 v[10:11], v[148:149], v[150:151]
	v_mul_f64 v[74:75], v[12:13], s[22:23]
	v_add_f64 v[70:71], v[90:91], v[70:71]
	;; [unrolled: 33-line block ×3, first 2 shown]
	v_fma_f64 v[90:91], s[28:29], v[10:11], v[74:75]
	v_fma_f64 v[74:75], v[10:11], s[28:29], -v[74:75]
	v_add_f64 v[14:15], v[74:75], v[14:15]
	v_mul_f64 v[74:75], v[12:13], s[36:37]
	v_add_f64 v[16:17], v[90:91], v[16:17]
	v_fma_f64 v[90:91], s[20:21], v[10:11], v[74:75]
	v_fma_f64 v[74:75], v[10:11], s[20:21], -v[74:75]
	v_add_f64 v[18:19], v[74:75], v[18:19]
	v_mul_f64 v[74:75], v[12:13], s[10:11]
	v_add_f64 v[20:21], v[90:91], v[20:21]
	;; [unrolled: 5-line block ×4, first 2 shown]
	v_fma_f64 v[90:91], s[14:15], v[10:11], v[74:75]
	v_fma_f64 v[74:75], v[10:11], s[14:15], -v[74:75]
	v_mul_f64 v[12:13], v[12:13], s[22:23]
	v_add_f64 v[68:69], v[74:75], v[68:69]
	v_fma_f64 v[74:75], s[24:25], v[10:11], v[12:13]
	v_fma_f64 v[10:11], v[10:11], s[24:25], -v[12:13]
	v_add_f64 v[12:13], v[2:3], -v[6:7]
	v_add_f64 v[72:73], v[74:75], v[72:73]
	v_add_f64 v[4:5], v[10:11], v[4:5]
	;; [unrolled: 1-line block ×3, first 2 shown]
	v_mul_f64 v[74:75], v[12:13], s[30:31]
	v_add_f64 v[70:71], v[90:91], v[70:71]
	v_fma_f64 v[90:91], s[34:35], v[10:11], v[74:75]
	v_fma_f64 v[74:75], v[10:11], s[34:35], -v[74:75]
	v_add_f64 v[14:15], v[74:75], v[14:15]
	v_mul_f64 v[74:75], v[12:13], s[40:41]
	v_add_f64 v[16:17], v[90:91], v[16:17]
	v_fma_f64 v[90:91], s[14:15], v[10:11], v[74:75]
	v_fma_f64 v[74:75], v[10:11], s[14:15], -v[74:75]
	v_add_f64 v[8:9], v[8:9], v[154:155]
	v_add_f64 v[18:19], v[74:75], v[18:19]
	v_mul_f64 v[74:75], v[12:13], s[26:27]
	v_add_f64 v[8:9], v[8:9], v[152:153]
	v_add_f64 v[20:21], v[90:91], v[20:21]
	v_fma_f64 v[90:91], s[28:29], v[10:11], v[74:75]
	v_fma_f64 v[74:75], v[10:11], s[28:29], -v[74:75]
	v_add_f64 v[8:9], v[8:9], v[148:149]
	v_add_f64 v[22:23], v[74:75], v[22:23]
	v_mul_f64 v[74:75], v[12:13], s[44:45]
	v_add_f64 v[8:9], v[8:9], v[110:111]
	v_add_f64 v[60:61], v[90:91], v[60:61]
	v_fma_f64 v[90:91], s[18:19], v[10:11], v[74:75]
	v_fma_f64 v[74:75], v[10:11], s[18:19], -v[74:75]
	v_add_f64 v[8:9], v[8:9], v[106:107]
	v_add_f64 v[62:63], v[74:75], v[62:63]
	v_mul_f64 v[74:75], v[12:13], s[22:23]
	v_add_f64 v[8:9], v[8:9], v[108:109]
	v_add_f64 v[66:67], v[90:91], v[66:67]
	v_fma_f64 v[90:91], s[24:25], v[10:11], v[74:75]
	v_fma_f64 v[74:75], v[10:11], s[24:25], -v[74:75]
	v_mul_f64 v[12:13], v[12:13], s[36:37]
	v_add_f64 v[8:9], v[8:9], v[146:147]
	v_add_f64 v[68:69], v[74:75], v[68:69]
	v_fma_f64 v[74:75], s[20:21], v[10:11], v[12:13]
	v_fma_f64 v[10:11], v[10:11], s[20:21], -v[12:13]
	v_add_f64 v[8:9], v[8:9], v[150:151]
	v_add_f64 v[4:5], v[10:11], v[4:5]
	v_lshrrev_b32_e32 v10, 2, v116
	v_add_f64 v[8:9], v[8:9], v[156:157]
	v_mul_u32_u24_e32 v10, 52, v10
	v_add_f64 v[8:9], v[8:9], v[160:161]
	v_or_b32_e32 v10, v10, v113
	v_add_f64 v[8:9], v[8:9], v[164:165]
	v_lshl_add_u32 v169, v10, 3, 0
	v_lshrrev_b32_e32 v168, 2, v132
	v_add_f64 v[70:71], v[90:91], v[70:71]
	v_add_f64 v[72:73], v[74:75], v[72:73]
	ds_write2_b64 v169, v[8:9], v[16:17] offset1:4
	ds_write2_b64 v169, v[20:21], v[60:61] offset0:8 offset1:12
	ds_write2_b64 v169, v[66:67], v[70:71] offset0:16 offset1:20
	;; [unrolled: 1-line block ×5, first 2 shown]
	ds_write_b64 v169, v[14:15] offset:384
	s_and_saveexec_b64 s[48:49], s[0:1]
	s_cbranch_execz .LBB0_19
; %bb.18:
	v_add_f64 v[188:189], v[76:77], -v[30:31]
	v_add_f64 v[170:171], v[64:65], -v[28:29]
	v_add_f64 v[186:187], v[104:105], v[58:59]
	v_mul_f64 v[190:191], v[188:189], s[30:31]
	v_add_f64 v[70:71], v[50:51], -v[54:55]
	v_add_f64 v[90:91], v[102:103], v[56:57]
	v_mul_f64 v[182:183], v[170:171], s[40:41]
	v_fma_f64 v[192:193], v[186:187], s[34:35], -v[190:191]
	v_add_f64 v[60:61], v[44:45], -v[48:49]
	v_add_f64 v[68:69], v[100:101], v[52:53]
	v_mul_f64 v[72:73], v[70:71], s[26:27]
	v_fma_f64 v[184:185], v[90:91], s[14:15], -v[182:183]
	v_add_f64 v[192:193], v[144:145], v[192:193]
	v_add_f64 v[16:17], v[38:39], -v[42:43]
	v_add_f64 v[22:23], v[98:99], v[46:47]
	v_mul_f64 v[62:63], v[60:61], s[44:45]
	v_fma_f64 v[74:75], v[68:69], s[28:29], -v[72:73]
	v_add_f64 v[184:185], v[184:185], v[192:193]
	;; [unrolled: 5-line block ×3, first 2 shown]
	v_add_f64 v[4:5], v[24:25], v[32:33]
	v_mul_f64 v[10:11], v[8:9], s[36:37]
	v_fma_f64 v[20:21], v[14:15], s[24:25], -v[18:19]
	v_add_f64 v[66:67], v[66:67], v[74:75]
	v_fma_f64 v[12:13], v[4:5], s[20:21], -v[10:11]
	v_add_f64 v[20:21], v[20:21], v[66:67]
	v_fmac_f64_e32 v[190:191], s[34:35], v[186:187]
	v_add_f64 v[12:13], v[12:13], v[20:21]
	v_fmac_f64_e32 v[182:183], s[14:15], v[90:91]
	v_add_f64 v[20:21], v[144:145], v[190:191]
	v_mul_f64 v[194:195], v[188:189], s[26:27]
	v_fmac_f64_e32 v[72:73], s[28:29], v[68:69]
	v_add_f64 v[20:21], v[182:183], v[20:21]
	v_mul_f64 v[190:191], v[170:171], s[36:37]
	v_fma_f64 v[196:197], v[186:187], s[28:29], -v[194:195]
	v_fmac_f64_e32 v[62:63], s[18:19], v[22:23]
	v_add_f64 v[20:21], v[72:73], v[20:21]
	v_mul_f64 v[182:183], v[70:71], s[10:11]
	v_fma_f64 v[192:193], v[90:91], s[20:21], -v[190:191]
	v_add_f64 v[196:197], v[144:145], v[196:197]
	v_fmac_f64_e32 v[18:19], s[24:25], v[14:15]
	v_add_f64 v[20:21], v[62:63], v[20:21]
	v_mul_f64 v[72:73], v[60:61], s[46:47]
	v_fma_f64 v[184:185], v[68:69], s[18:19], -v[182:183]
	v_add_f64 v[192:193], v[192:193], v[196:197]
	v_fmac_f64_e32 v[10:11], s[20:21], v[4:5]
	v_add_f64 v[18:19], v[18:19], v[20:21]
	v_mul_f64 v[62:63], v[16:17], s[40:41]
	v_fma_f64 v[74:75], v[22:23], s[34:35], -v[72:73]
	v_add_f64 v[184:185], v[184:185], v[192:193]
	v_add_f64 v[10:11], v[10:11], v[18:19]
	v_mul_f64 v[18:19], v[8:9], s[22:23]
	v_fma_f64 v[66:67], v[14:15], s[14:15], -v[62:63]
	v_add_f64 v[74:75], v[74:75], v[184:185]
	v_fma_f64 v[20:21], v[4:5], s[24:25], -v[18:19]
	v_add_f64 v[66:67], v[66:67], v[74:75]
	v_fmac_f64_e32 v[194:195], s[28:29], v[186:187]
	v_add_f64 v[20:21], v[20:21], v[66:67]
	v_fmac_f64_e32 v[190:191], s[20:21], v[90:91]
	v_add_f64 v[66:67], v[144:145], v[194:195]
	v_mul_f64 v[198:199], v[188:189], s[22:23]
	v_fmac_f64_e32 v[182:183], s[18:19], v[68:69]
	v_add_f64 v[66:67], v[190:191], v[66:67]
	v_mul_f64 v[194:195], v[170:171], s[38:39]
	v_fma_f64 v[200:201], v[186:187], s[24:25], -v[198:199]
	v_fmac_f64_e32 v[72:73], s[34:35], v[22:23]
	v_add_f64 v[66:67], v[182:183], v[66:67]
	v_mul_f64 v[190:191], v[70:71], s[40:41]
	v_fma_f64 v[196:197], v[90:91], s[28:29], -v[194:195]
	v_add_f64 v[200:201], v[144:145], v[200:201]
	v_fmac_f64_e32 v[62:63], s[14:15], v[14:15]
	v_add_f64 v[66:67], v[72:73], v[66:67]
	v_mul_f64 v[182:183], v[60:61], s[12:13]
	v_fma_f64 v[192:193], v[68:69], s[14:15], -v[190:191]
	v_add_f64 v[196:197], v[196:197], v[200:201]
	v_fmac_f64_e32 v[18:19], s[24:25], v[4:5]
	v_add_f64 v[62:63], v[62:63], v[66:67]
	v_mul_f64 v[72:73], v[16:17], s[46:47]
	v_fma_f64 v[184:185], v[22:23], s[20:21], -v[182:183]
	v_add_f64 v[192:193], v[192:193], v[196:197]
	;; [unrolled: 30-line block ×4, first 2 shown]
	v_add_f64 v[72:73], v[72:73], v[182:183]
	v_mul_f64 v[182:183], v[8:9], s[40:41]
	v_fma_f64 v[192:193], v[14:15], s[20:21], -v[190:191]
	v_add_f64 v[196:197], v[196:197], v[200:201]
	v_fma_f64 v[184:185], v[4:5], s[14:15], -v[182:183]
	v_add_f64 v[192:193], v[192:193], v[196:197]
	v_fmac_f64_e32 v[206:207], s[18:19], v[186:187]
	v_add_f64 v[184:185], v[184:185], v[192:193]
	v_fmac_f64_e32 v[202:203], s[24:25], v[90:91]
	;; [unrolled: 2-line block ×5, first 2 shown]
	v_add_f64 v[192:193], v[194:195], v[192:193]
	v_mul_f64 v[188:189], v[188:189], s[4:5]
	v_fmac_f64_e32 v[182:183], s[14:15], v[4:5]
	v_add_f64 v[190:191], v[190:191], v[192:193]
	v_mul_f64 v[8:9], v[8:9], s[30:31]
	v_mul_f64 v[170:171], v[170:171], s[10:11]
	v_fma_f64 v[200:201], v[186:187], s[14:15], -v[188:189]
	v_fmac_f64_e32 v[188:189], s[14:15], v[186:187]
	v_add_f64 v[182:183], v[182:183], v[190:191]
	v_fma_f64 v[190:191], v[4:5], s[34:35], -v[8:9]
	v_mul_f64 v[70:71], v[70:71], s[12:13]
	v_fma_f64 v[198:199], v[90:91], s[18:19], -v[170:171]
	v_fmac_f64_e32 v[8:9], s[34:35], v[4:5]
	v_fmac_f64_e32 v[170:171], s[18:19], v[90:91]
	v_add_f64 v[4:5], v[144:145], v[188:189]
	v_mul_f64 v[60:61], v[60:61], s[22:23]
	v_fma_f64 v[196:197], v[68:69], s[20:21], -v[70:71]
	v_fmac_f64_e32 v[70:71], s[20:21], v[68:69]
	v_add_f64 v[4:5], v[170:171], v[4:5]
	v_mul_f64 v[16:17], v[16:17], s[26:27]
	v_fma_f64 v[194:195], v[22:23], s[24:25], -v[60:61]
	v_fmac_f64_e32 v[60:61], s[24:25], v[22:23]
	v_add_f64 v[4:5], v[70:71], v[4:5]
	v_fma_f64 v[192:193], v[14:15], s[28:29], -v[16:17]
	v_fmac_f64_e32 v[16:17], s[28:29], v[14:15]
	v_add_f64 v[4:5], v[60:61], v[4:5]
	v_add_f64 v[4:5], v[16:17], v[4:5]
	;; [unrolled: 1-line block ×16, first 2 shown]
	v_mul_lo_u32 v14, v168, 52
	v_add_f64 v[194:195], v[194:195], v[196:197]
	v_add_f64 v[8:9], v[8:9], v[56:57]
	v_or_b32_e32 v14, v14, v113
	v_add_f64 v[192:193], v[192:193], v[194:195]
	v_add_f64 v[8:9], v[8:9], v[58:59]
	v_lshl_add_u32 v14, v14, 3, 0
	v_add_f64 v[190:191], v[190:191], v[192:193]
	ds_write2_b64 v14, v[8:9], v[4:5] offset1:4
	ds_write2_b64 v14, v[182:183], v[72:73] offset0:8 offset1:12
	ds_write2_b64 v14, v[62:63], v[18:19] offset0:16 offset1:20
	;; [unrolled: 1-line block ×5, first 2 shown]
	ds_write_b64 v14, v[190:191] offset:384
.LBB0_19:
	s_or_b64 exec, exec, s[48:49]
	v_add_f64 v[4:5], v[0:1], v[166:167]
	v_add_f64 v[4:5], v[4:5], v[162:163]
	;; [unrolled: 1-line block ×13, first 2 shown]
	v_add_f64 v[8:9], v[158:159], -v[164:165]
	v_mul_f64 v[10:11], v[4:5], s[14:15]
	v_mul_f64 v[14:15], v[4:5], s[18:19]
	;; [unrolled: 1-line block ×6, first 2 shown]
	v_fma_f64 v[12:13], s[40:41], v[8:9], v[10:11]
	v_fmac_f64_e32 v[10:11], s[4:5], v[8:9]
	v_fma_f64 v[16:17], s[44:45], v[8:9], v[14:15]
	v_fmac_f64_e32 v[14:15], s[10:11], v[8:9]
	;; [unrolled: 2-line block ×6, first 2 shown]
	v_add_f64 v[12:13], v[0:1], v[12:13]
	v_add_f64 v[10:11], v[0:1], v[10:11]
	;; [unrolled: 1-line block ×13, first 2 shown]
	v_add_f64 v[8:9], v[154:155], -v[160:161]
	v_mul_f64 v[70:71], v[4:5], s[18:19]
	v_fma_f64 v[72:73], s[44:45], v[8:9], v[70:71]
	v_fmac_f64_e32 v[70:71], s[10:11], v[8:9]
	v_add_f64 v[10:11], v[70:71], v[10:11]
	v_mul_f64 v[70:71], v[4:5], s[24:25]
	v_add_f64 v[12:13], v[72:73], v[12:13]
	v_fma_f64 v[72:73], s[42:43], v[8:9], v[70:71]
	v_fmac_f64_e32 v[70:71], s[22:23], v[8:9]
	v_add_f64 v[14:15], v[70:71], v[14:15]
	v_mul_f64 v[70:71], v[4:5], s[34:35]
	v_add_f64 v[16:17], v[72:73], v[16:17]
	v_fma_f64 v[72:73], s[46:47], v[8:9], v[70:71]
	v_fmac_f64_e32 v[70:71], s[30:31], v[8:9]
	v_add_f64 v[18:19], v[70:71], v[18:19]
	v_mul_f64 v[70:71], v[4:5], s[28:29]
	v_add_f64 v[20:21], v[72:73], v[20:21]
	v_fma_f64 v[72:73], s[26:27], v[8:9], v[70:71]
	v_fmac_f64_e32 v[70:71], s[38:39], v[8:9]
	v_add_f64 v[22:23], v[70:71], v[22:23]
	v_mul_f64 v[70:71], v[4:5], s[20:21]
	v_add_f64 v[60:61], v[72:73], v[60:61]
	v_fma_f64 v[72:73], s[12:13], v[8:9], v[70:71]
	v_fmac_f64_e32 v[70:71], s[36:37], v[8:9]
	v_mul_f64 v[4:5], v[4:5], s[14:15]
	v_add_f64 v[62:63], v[70:71], v[62:63]
	v_fma_f64 v[70:71], s[4:5], v[8:9], v[4:5]
	v_fmac_f64_e32 v[4:5], s[40:41], v[8:9]
	v_add_f64 v[0:1], v[4:5], v[0:1]
	v_add_f64 v[4:5], v[94:95], v[84:85]
	v_add_f64 v[68:69], v[70:71], v[68:69]
	v_add_f64 v[8:9], v[152:153], -v[156:157]
	v_mul_f64 v[70:71], v[4:5], s[20:21]
	v_add_f64 v[66:67], v[72:73], v[66:67]
	v_fma_f64 v[72:73], s[36:37], v[8:9], v[70:71]
	v_fmac_f64_e32 v[70:71], s[12:13], v[8:9]
	v_add_f64 v[10:11], v[70:71], v[10:11]
	v_mul_f64 v[70:71], v[4:5], s[34:35]
	v_add_f64 v[12:13], v[72:73], v[12:13]
	v_fma_f64 v[72:73], s[46:47], v[8:9], v[70:71]
	v_fmac_f64_e32 v[70:71], s[30:31], v[8:9]
	v_add_f64 v[14:15], v[70:71], v[14:15]
	v_mul_f64 v[70:71], v[4:5], s[24:25]
	v_add_f64 v[16:17], v[72:73], v[16:17]
	v_fma_f64 v[72:73], s[22:23], v[8:9], v[70:71]
	v_fmac_f64_e32 v[70:71], s[42:43], v[8:9]
	v_add_f64 v[18:19], v[70:71], v[18:19]
	v_mul_f64 v[70:71], v[4:5], s[14:15]
	v_add_f64 v[20:21], v[72:73], v[20:21]
	v_fma_f64 v[72:73], s[4:5], v[8:9], v[70:71]
	v_fmac_f64_e32 v[70:71], s[40:41], v[8:9]
	v_add_f64 v[22:23], v[70:71], v[22:23]
	v_mul_f64 v[70:71], v[4:5], s[18:19]
	v_add_f64 v[60:61], v[72:73], v[60:61]
	v_fma_f64 v[72:73], s[44:45], v[8:9], v[70:71]
	v_fmac_f64_e32 v[70:71], s[10:11], v[8:9]
	v_mul_f64 v[4:5], v[4:5], s[28:29]
	v_add_f64 v[62:63], v[70:71], v[62:63]
	v_fma_f64 v[70:71], s[38:39], v[8:9], v[4:5]
	v_fmac_f64_e32 v[4:5], s[26:27], v[8:9]
	v_add_f64 v[0:1], v[4:5], v[0:1]
	v_add_f64 v[4:5], v[92:93], v[82:83]
	v_add_f64 v[68:69], v[70:71], v[68:69]
	v_add_f64 v[8:9], v[148:149], -v[150:151]
	v_mul_f64 v[70:71], v[4:5], s[24:25]
	v_add_f64 v[66:67], v[72:73], v[66:67]
	;; [unrolled: 32-line block ×3, first 2 shown]
	v_fma_f64 v[72:73], s[38:39], v[8:9], v[70:71]
	v_fmac_f64_e32 v[70:71], s[26:27], v[8:9]
	v_add_f64 v[10:11], v[70:71], v[10:11]
	v_mul_f64 v[70:71], v[4:5], s[20:21]
	v_add_f64 v[12:13], v[72:73], v[12:13]
	v_fma_f64 v[72:73], s[12:13], v[8:9], v[70:71]
	v_fmac_f64_e32 v[70:71], s[36:37], v[8:9]
	v_add_f64 v[14:15], v[70:71], v[14:15]
	v_mul_f64 v[70:71], v[4:5], s[18:19]
	v_add_f64 v[16:17], v[72:73], v[16:17]
	;; [unrolled: 5-line block ×4, first 2 shown]
	v_fma_f64 v[72:73], s[4:5], v[8:9], v[70:71]
	v_fmac_f64_e32 v[70:71], s[40:41], v[8:9]
	v_mul_f64 v[4:5], v[4:5], s[24:25]
	v_add_f64 v[62:63], v[70:71], v[62:63]
	v_fma_f64 v[70:71], s[42:43], v[8:9], v[4:5]
	v_fmac_f64_e32 v[4:5], s[22:23], v[8:9]
	v_add_f64 v[2:3], v[2:3], v[6:7]
	v_add_f64 v[0:1], v[4:5], v[0:1]
	v_add_f64 v[4:5], v[106:107], -v[108:109]
	v_mul_f64 v[6:7], v[2:3], s[34:35]
	v_fma_f64 v[8:9], s[46:47], v[4:5], v[6:7]
	v_fmac_f64_e32 v[6:7], s[30:31], v[4:5]
	v_add_f64 v[144:145], v[6:7], v[10:11]
	v_mul_f64 v[6:7], v[2:3], s[14:15]
	v_add_f64 v[88:89], v[8:9], v[12:13]
	v_fma_f64 v[8:9], s[4:5], v[4:5], v[6:7]
	v_fmac_f64_e32 v[6:7], s[40:41], v[4:5]
	v_add_f64 v[148:149], v[6:7], v[14:15]
	v_mul_f64 v[6:7], v[2:3], s[28:29]
	v_add_f64 v[146:147], v[8:9], v[16:17]
	;; [unrolled: 5-line block ×4, first 2 shown]
	v_fma_f64 v[8:9], s[42:43], v[4:5], v[6:7]
	v_fmac_f64_e32 v[6:7], s[22:23], v[4:5]
	v_mul_f64 v[2:3], v[2:3], s[20:21]
	v_add_f64 v[66:67], v[72:73], v[66:67]
	v_add_f64 v[68:69], v[70:71], v[68:69]
	;; [unrolled: 1-line block ×3, first 2 shown]
	v_fma_f64 v[6:7], s[12:13], v[4:5], v[2:3]
	v_fmac_f64_e32 v[2:3], s[36:37], v[4:5]
	v_add_u32_e32 v111, 0x1000, v172
	v_add_u32_e32 v141, 0x1400, v172
	;; [unrolled: 1-line block ×7, first 2 shown]
	v_add_f64 v[158:159], v[8:9], v[66:67]
	v_add_f64 v[162:163], v[6:7], v[68:69]
	;; [unrolled: 1-line block ×3, first 2 shown]
	s_waitcnt lgkmcnt(0)
	; wave barrier
	s_waitcnt lgkmcnt(0)
	ds_read2_b64 v[20:23], v111 offset0:112 offset1:164
	ds_read2_b64 v[12:15], v141 offset0:88 offset1:140
	v_add_u32_e32 v92, v117, v180
	ds_read_b64 v[86:87], v172
	ds_read_b64 v[82:83], v173
	;; [unrolled: 1-line block ×4, first 2 shown]
	ds_read2_b64 v[16:19], v123 offset0:64 offset1:116
	v_add_u32_e32 v95, v127, v177
	ds_read2_b64 v[4:7], v123 offset0:168 offset1:220
	v_add_u32_e32 v106, v129, v176
	ds_read_b64 v[84:85], v93
	ds_read_b64 v[78:79], v94
	;; [unrolled: 1-line block ×4, first 2 shown]
	ds_read2_b64 v[8:11], v125 offset0:16 offset1:68
	v_add_u32_e32 v108, v133, v143
	v_add_u32_e32 v109, v135, v139
	ds_read2_b64 v[0:3], v125 offset0:120 offset1:172
	v_add_u32_e32 v110, v137, v115
	ds_read_b64 v[80:81], v107
	ds_read_b64 v[72:73], v108
	;; [unrolled: 1-line block ×4, first 2 shown]
	s_movk_i32 s33, 0x1000
	s_waitcnt lgkmcnt(0)
	; wave barrier
	s_waitcnt lgkmcnt(0)
	ds_write2_b64 v169, v[90:91], v[88:89] offset1:4
	ds_write2_b64 v169, v[146:147], v[150:151] offset0:8 offset1:12
	ds_write2_b64 v169, v[154:155], v[158:159] offset0:16 offset1:20
	;; [unrolled: 1-line block ×5, first 2 shown]
	ds_write_b64 v169, v[144:145] offset:384
	s_and_saveexec_b64 s[4:5], s[0:1]
	s_cbranch_execz .LBB0_21
; %bb.20:
	v_add_f64 v[88:89], v[96:97], v[76:77]
	v_add_f64 v[88:89], v[88:89], v[64:65]
	;; [unrolled: 1-line block ×11, first 2 shown]
	s_mov_b32 s0, 0xe00740e9
	s_mov_b32 s12, 0x1ea71119
	s_mov_b32 s28, 0xb2365da1
	s_mov_b32 s36, 0xd0032e0c
	s_mov_b32 s42, 0x93053d00
	v_add_f64 v[88:89], v[88:89], v[30:31]
	v_add_f64 v[30:31], v[76:77], v[30:31]
	s_mov_b32 s1, 0x3fec55a7
	s_mov_b32 s10, 0x4267c47c
	;; [unrolled: 1-line block ×11, first 2 shown]
	v_add_f64 v[58:59], v[104:105], -v[58:59]
	v_mul_f64 v[76:77], v[30:31], s[0:1]
	s_mov_b32 s11, 0x3fddbe06
	s_mov_b32 s19, 0xbfddbe06
	s_mov_b32 s18, s10
	v_mul_f64 v[104:105], v[30:31], s[12:13]
	s_mov_b32 s15, 0x3fea55e2
	s_mov_b32 s25, 0xbfea55e2
	s_mov_b32 s24, s14
	;; [unrolled: 4-line block ×6, first 2 shown]
	v_add_f64 v[28:29], v[64:65], v[28:29]
	v_fma_f64 v[90:91], s[10:11], v[58:59], v[76:77]
	v_fmac_f64_e32 v[76:77], s[18:19], v[58:59]
	v_fma_f64 v[144:145], s[14:15], v[58:59], v[104:105]
	v_fmac_f64_e32 v[104:105], s[24:25], v[58:59]
	;; [unrolled: 2-line block ×6, first 2 shown]
	v_add_f64 v[56:57], v[102:103], -v[56:57]
	v_mul_f64 v[58:59], v[28:29], s[12:13]
	v_add_f64 v[76:77], v[96:97], v[76:77]
	v_fma_f64 v[64:65], s[14:15], v[56:57], v[58:59]
	v_fmac_f64_e32 v[58:59], s[24:25], v[56:57]
	v_add_f64 v[90:91], v[96:97], v[90:91]
	v_add_f64 v[58:59], v[58:59], v[76:77]
	v_mul_f64 v[76:77], v[28:29], s[28:29]
	v_add_f64 v[144:145], v[96:97], v[144:145]
	v_add_f64 v[104:105], v[96:97], v[104:105]
	v_add_f64 v[148:149], v[96:97], v[148:149]
	v_add_f64 v[146:147], v[96:97], v[146:147]
	v_add_f64 v[152:153], v[96:97], v[152:153]
	v_add_f64 v[150:151], v[96:97], v[150:151]
	v_add_f64 v[156:157], v[96:97], v[156:157]
	v_add_f64 v[154:155], v[96:97], v[154:155]
	v_add_f64 v[158:159], v[96:97], v[158:159]
	v_add_f64 v[30:31], v[96:97], v[30:31]
	v_add_f64 v[64:65], v[64:65], v[90:91]
	v_fma_f64 v[90:91], s[30:31], v[56:57], v[76:77]
	v_fmac_f64_e32 v[76:77], s[34:35], v[56:57]
	v_mul_f64 v[96:97], v[28:29], s[42:43]
	v_add_f64 v[76:77], v[76:77], v[104:105]
	v_fma_f64 v[102:103], s[44:45], v[56:57], v[96:97]
	v_fmac_f64_e32 v[96:97], s[46:47], v[56:57]
	v_mul_f64 v[104:105], v[28:29], s[36:37]
	v_add_f64 v[90:91], v[90:91], v[144:145]
	v_add_f64 v[96:97], v[96:97], v[146:147]
	v_fma_f64 v[144:145], s[40:41], v[56:57], v[104:105]
	v_fmac_f64_e32 v[104:105], s[38:39], v[56:57]
	v_mul_f64 v[146:147], v[28:29], s[20:21]
	v_mul_f64 v[28:29], v[28:29], s[0:1]
	v_add_f64 v[104:105], v[104:105], v[150:151]
	v_fma_f64 v[150:151], s[18:19], v[56:57], v[28:29]
	v_fmac_f64_e32 v[28:29], s[10:11], v[56:57]
	v_add_f64 v[28:29], v[28:29], v[30:31]
	v_add_f64 v[30:31], v[50:51], v[54:55]
	v_add_f64 v[50:51], v[100:101], -v[52:53]
	v_mul_f64 v[52:53], v[30:31], s[20:21]
	v_add_f64 v[102:103], v[102:103], v[148:149]
	v_fma_f64 v[148:149], s[26:27], v[56:57], v[146:147]
	v_fmac_f64_e32 v[146:147], s[22:23], v[56:57]
	v_fma_f64 v[54:55], s[22:23], v[50:51], v[52:53]
	v_fmac_f64_e32 v[52:53], s[26:27], v[50:51]
	v_mul_f64 v[56:57], v[30:31], s[42:43]
	v_add_f64 v[54:55], v[54:55], v[64:65]
	v_add_f64 v[52:53], v[52:53], v[58:59]
	v_fma_f64 v[58:59], s[44:45], v[50:51], v[56:57]
	v_fmac_f64_e32 v[56:57], s[46:47], v[50:51]
	v_mul_f64 v[64:65], v[30:31], s[28:29]
	v_add_f64 v[58:59], v[58:59], v[90:91]
	v_add_f64 v[56:57], v[56:57], v[76:77]
	v_fma_f64 v[76:77], s[34:35], v[50:51], v[64:65]
	v_fmac_f64_e32 v[64:65], s[30:31], v[50:51]
	v_mul_f64 v[90:91], v[30:31], s[0:1]
	v_add_f64 v[64:65], v[64:65], v[96:97]
	v_fma_f64 v[96:97], s[18:19], v[50:51], v[90:91]
	v_fmac_f64_e32 v[90:91], s[10:11], v[50:51]
	v_mul_f64 v[100:101], v[30:31], s[12:13]
	v_mul_f64 v[30:31], v[30:31], s[36:37]
	v_add_f64 v[90:91], v[90:91], v[104:105]
	v_fma_f64 v[104:105], s[38:39], v[50:51], v[30:31]
	v_fmac_f64_e32 v[30:31], s[40:41], v[50:51]
	v_add_f64 v[28:29], v[30:31], v[28:29]
	v_add_f64 v[30:31], v[44:45], v[48:49]
	v_add_f64 v[44:45], v[98:99], -v[46:47]
	v_mul_f64 v[46:47], v[30:31], s[28:29]
	v_add_f64 v[76:77], v[76:77], v[102:103]
	v_fma_f64 v[102:103], s[14:15], v[50:51], v[100:101]
	v_fmac_f64_e32 v[100:101], s[24:25], v[50:51]
	v_fma_f64 v[48:49], s[30:31], v[44:45], v[46:47]
	v_fmac_f64_e32 v[46:47], s[34:35], v[44:45]
	v_mul_f64 v[50:51], v[30:31], s[36:37]
	v_add_f64 v[48:49], v[48:49], v[54:55]
	v_add_f64 v[46:47], v[46:47], v[52:53]
	v_fma_f64 v[52:53], s[40:41], v[44:45], v[50:51]
	v_fmac_f64_e32 v[50:51], s[38:39], v[44:45]
	v_mul_f64 v[54:55], v[30:31], s[0:1]
	v_add_f64 v[144:145], v[144:145], v[152:153]
	v_add_f64 v[52:53], v[52:53], v[58:59]
	;; [unrolled: 1-line block ×3, first 2 shown]
	v_fma_f64 v[56:57], s[18:19], v[44:45], v[54:55]
	v_fmac_f64_e32 v[54:55], s[10:11], v[44:45]
	v_mul_f64 v[58:59], v[30:31], s[20:21]
	v_add_f64 v[96:97], v[96:97], v[144:145]
	v_add_f64 v[56:57], v[56:57], v[76:77]
	;; [unrolled: 1-line block ×3, first 2 shown]
	v_fma_f64 v[64:65], s[22:23], v[44:45], v[58:59]
	v_mul_f64 v[76:77], v[30:31], s[42:43]
	v_mul_f64 v[30:31], v[30:31], s[12:13]
	v_add_f64 v[64:65], v[64:65], v[96:97]
	v_fma_f64 v[96:97], s[24:25], v[44:45], v[30:31]
	v_fmac_f64_e32 v[30:31], s[14:15], v[44:45]
	v_add_f64 v[28:29], v[30:31], v[28:29]
	v_add_f64 v[30:31], v[38:39], v[42:43]
	v_add_f64 v[36:37], v[36:37], -v[40:41]
	v_mul_f64 v[38:39], v[30:31], s[36:37]
	v_fmac_f64_e32 v[58:59], s[26:27], v[44:45]
	v_fma_f64 v[40:41], s[38:39], v[36:37], v[38:39]
	v_fmac_f64_e32 v[38:39], s[40:41], v[36:37]
	v_mul_f64 v[42:43], v[30:31], s[20:21]
	v_add_f64 v[58:59], v[58:59], v[90:91]
	v_fma_f64 v[90:91], s[46:47], v[44:45], v[76:77]
	v_fmac_f64_e32 v[76:77], s[44:45], v[44:45]
	v_add_f64 v[38:39], v[38:39], v[46:47]
	v_fma_f64 v[44:45], s[26:27], v[36:37], v[42:43]
	v_fmac_f64_e32 v[42:43], s[22:23], v[36:37]
	v_mul_f64 v[46:47], v[30:31], s[12:13]
	v_add_f64 v[40:41], v[40:41], v[48:49]
	v_add_f64 v[42:43], v[42:43], v[50:51]
	v_fma_f64 v[48:49], s[14:15], v[36:37], v[46:47]
	v_fmac_f64_e32 v[46:47], s[24:25], v[36:37]
	v_mul_f64 v[50:51], v[30:31], s[42:43]
	v_add_f64 v[44:45], v[44:45], v[52:53]
	v_add_f64 v[46:47], v[46:47], v[54:55]
	v_fma_f64 v[52:53], s[46:47], v[36:37], v[50:51]
	v_fmac_f64_e32 v[50:51], s[44:45], v[36:37]
	v_mul_f64 v[54:55], v[30:31], s[0:1]
	v_mul_f64 v[30:31], v[30:31], s[28:29]
	v_add_f64 v[50:51], v[50:51], v[58:59]
	v_fma_f64 v[58:59], s[30:31], v[36:37], v[30:31]
	v_fmac_f64_e32 v[30:31], s[34:35], v[36:37]
	v_add_f64 v[26:27], v[26:27], v[34:35]
	v_add_f64 v[28:29], v[30:31], v[28:29]
	v_add_f64 v[24:25], v[24:25], -v[32:33]
	v_mul_f64 v[30:31], v[26:27], s[42:43]
	v_fma_f64 v[32:33], s[44:45], v[24:25], v[30:31]
	v_fmac_f64_e32 v[30:31], s[46:47], v[24:25]
	v_mul_f64 v[34:35], v[26:27], s[0:1]
	v_add_f64 v[48:49], v[48:49], v[56:57]
	v_fma_f64 v[56:57], s[18:19], v[36:37], v[54:55]
	v_fmac_f64_e32 v[54:55], s[10:11], v[36:37]
	v_add_f64 v[30:31], v[30:31], v[38:39]
	v_fma_f64 v[36:37], s[18:19], v[24:25], v[34:35]
	v_fmac_f64_e32 v[34:35], s[10:11], v[24:25]
	v_mul_f64 v[38:39], v[26:27], s[36:37]
	v_add_f64 v[32:33], v[32:33], v[40:41]
	v_add_f64 v[34:35], v[34:35], v[42:43]
	v_fma_f64 v[40:41], s[38:39], v[24:25], v[38:39]
	v_fmac_f64_e32 v[38:39], s[40:41], v[24:25]
	v_mul_f64 v[42:43], v[26:27], s[12:13]
	v_add_f64 v[36:37], v[36:37], v[44:45]
	v_add_f64 v[38:39], v[38:39], v[46:47]
	v_fma_f64 v[44:45], s[24:25], v[24:25], v[42:43]
	v_fmac_f64_e32 v[42:43], s[14:15], v[24:25]
	v_mul_f64 v[46:47], v[26:27], s[28:29]
	v_mul_f64 v[26:27], v[26:27], s[20:21]
	v_add_f64 v[148:149], v[148:149], v[156:157]
	v_add_f64 v[146:147], v[146:147], v[154:155]
	;; [unrolled: 1-line block ×4, first 2 shown]
	v_fma_f64 v[50:51], s[26:27], v[24:25], v[26:27]
	v_fmac_f64_e32 v[26:27], s[22:23], v[24:25]
	v_add_f64 v[102:103], v[102:103], v[148:149]
	v_add_f64 v[100:101], v[100:101], v[146:147]
	v_add_f64 v[104:105], v[104:105], v[150:151]
	v_add_f64 v[40:41], v[40:41], v[48:49]
	v_fma_f64 v[48:49], s[30:31], v[24:25], v[46:47]
	v_fmac_f64_e32 v[46:47], s[34:35], v[24:25]
	v_add_f64 v[24:25], v[26:27], v[28:29]
	v_mul_lo_u32 v26, v168, 52
	v_add_f64 v[90:91], v[90:91], v[102:103]
	v_add_f64 v[76:77], v[76:77], v[100:101]
	;; [unrolled: 1-line block ×3, first 2 shown]
	v_or_b32_e32 v26, v26, v113
	v_add_f64 v[52:53], v[52:53], v[64:65]
	v_add_f64 v[56:57], v[56:57], v[90:91]
	;; [unrolled: 1-line block ×4, first 2 shown]
	v_lshl_add_u32 v26, v26, 3, 0
	v_add_f64 v[44:45], v[44:45], v[52:53]
	v_add_f64 v[48:49], v[48:49], v[56:57]
	;; [unrolled: 1-line block ×4, first 2 shown]
	ds_write2_b64 v26, v[88:89], v[32:33] offset1:4
	ds_write2_b64 v26, v[36:37], v[40:41] offset0:8 offset1:12
	ds_write2_b64 v26, v[44:45], v[48:49] offset0:16 offset1:20
	;; [unrolled: 1-line block ×5, first 2 shown]
	ds_write_b64 v26, v[30:31] offset:384
.LBB0_21:
	s_or_b64 exec, exec, s[4:5]
	s_movk_i32 s0, 0x4f
	v_mul_lo_u16_sdwa v28, v134, s0 dst_sel:DWORD dst_unused:UNUSED_PAD src0_sel:BYTE_0 src1_sel:DWORD
	v_lshrrev_b16_e32 v28, 12, v28
	v_mul_lo_u16_e32 v28, 52, v28
	v_sub_u16_e32 v28, v134, v28
	v_and_b32_e32 v113, 0xff, v28
	v_mul_lo_u16_sdwa v28, v136, s0 dst_sel:DWORD dst_unused:UNUSED_PAD src0_sel:BYTE_0 src1_sel:DWORD
	v_lshrrev_b16_e32 v28, 12, v28
	v_mul_lo_u16_e32 v28, 52, v28
	v_mov_b32_e32 v117, 0
	v_sub_u16_e32 v28, v136, v28
	s_movk_i32 s0, 0x4ec5
	v_lshl_add_u64 v[46:47], v[116:117], 4, s[8:9]
	v_lshlrev_b32_e32 v36, 4, v113
	v_and_b32_e32 v115, 0xff, v28
	v_mul_u32_u24_sdwa v127, v138, s0 dst_sel:DWORD dst_unused:UNUSED_PAD src0_sel:WORD_0 src1_sel:DWORD
	s_waitcnt lgkmcnt(0)
	; wave barrier
	s_waitcnt lgkmcnt(0)
	global_load_dwordx4 v[24:27], v[46:47], off offset:800
	v_lshlrev_b32_e32 v37, 4, v115
	global_load_dwordx4 v[28:31], v36, s[8:9] offset:800
	global_load_dwordx4 v[32:35], v37, s[8:9] offset:800
	v_lshrrev_b32_e32 v36, 20, v127
	v_mul_lo_u16_e32 v36, 52, v36
	v_mul_u32_u24_sdwa v131, v142, s0 dst_sel:DWORD dst_unused:UNUSED_PAD src0_sel:WORD_0 src1_sel:DWORD
	v_sub_u16_e32 v129, v138, v36
	v_lshrrev_b32_e32 v36, 20, v131
	v_mul_lo_u16_e32 v36, 52, v36
	v_lshlrev_b32_e32 v44, 4, v129
	v_sub_u16_e32 v133, v142, v36
	v_mul_u32_u24_sdwa v135, v122, s0 dst_sel:DWORD dst_unused:UNUSED_PAD src0_sel:WORD_0 src1_sel:DWORD
	v_lshlrev_b32_e32 v45, 4, v133
	global_load_dwordx4 v[36:39], v44, s[8:9] offset:800
	global_load_dwordx4 v[40:43], v45, s[8:9] offset:800
	v_lshrrev_b32_e32 v44, 20, v135
	v_mul_u32_u24_sdwa v139, v124, s0 dst_sel:DWORD dst_unused:UNUSED_PAD src0_sel:WORD_0 src1_sel:DWORD
	v_mul_lo_u16_e32 v44, 52, v44
	v_lshrrev_b32_e32 v45, 20, v139
	v_sub_u16_e32 v137, v122, v44
	v_mul_lo_u16_e32 v45, 52, v45
	v_lshlrev_b32_e32 v44, 4, v137
	v_sub_u16_e32 v143, v124, v45
	v_lshlrev_b32_e32 v45, 4, v143
	global_load_dwordx4 v[48:51], v44, s[8:9] offset:800
	global_load_dwordx4 v[52:55], v45, s[8:9] offset:800
	v_mul_u32_u24_sdwa v44, v126, s0 dst_sel:DWORD dst_unused:UNUSED_PAD src0_sel:WORD_0 src1_sel:DWORD
	v_lshrrev_b32_e32 v44, 20, v44
	v_mul_u32_u24_sdwa v45, v128, s0 dst_sel:DWORD dst_unused:UNUSED_PAD src0_sel:WORD_0 src1_sel:DWORD
	v_mul_lo_u16_e32 v44, 52, v44
	v_lshrrev_b32_e32 v45, 20, v45
	v_sub_u16_e32 v175, v126, v44
	v_mul_lo_u16_e32 v45, 52, v45
	v_lshlrev_b32_e32 v44, 4, v175
	v_sub_u16_e32 v190, v128, v45
	v_lshlrev_b32_e32 v45, 4, v190
	global_load_dwordx4 v[56:59], v44, s[8:9] offset:800
	global_load_dwordx4 v[88:91], v45, s[8:9] offset:800
	v_mul_u32_u24_sdwa v44, v130, s0 dst_sel:DWORD dst_unused:UNUSED_PAD src0_sel:WORD_0 src1_sel:DWORD
	v_lshrrev_b32_e32 v44, 20, v44
	v_mul_lo_u16_e32 v44, 52, v44
	v_sub_u16_e32 v191, v130, v44
	v_mul_u32_u24_sdwa v45, v140, s0 dst_sel:DWORD dst_unused:UNUSED_PAD src0_sel:WORD_0 src1_sel:DWORD
	v_lshlrev_b32_e32 v44, 4, v191
	v_lshrrev_b32_e32 v45, 20, v45
	global_load_dwordx4 v[96:99], v44, s[8:9] offset:800
	v_mul_lo_u16_e32 v44, 52, v45
	v_sub_u16_e32 v192, v140, v44
	v_lshlrev_b32_e32 v44, 4, v192
	global_load_dwordx4 v[100:103], v44, s[8:9] offset:800
	ds_read2_b64 v[144:147], v111 offset0:112 offset1:164
	ds_read_b64 v[44:45], v172
	ds_read_b64 v[64:65], v173
	;; [unrolled: 1-line block ×3, first 2 shown]
	ds_read2_b64 v[148:151], v141 offset0:88 offset1:140
	ds_read2_b64 v[152:155], v123 offset0:64 offset1:116
	ds_read_b64 v[104:105], v92
	ds_read_b64 v[168:169], v93
	;; [unrolled: 1-line block ×4, first 2 shown]
	ds_read2_b64 v[156:159], v123 offset0:168 offset1:220
	ds_read2_b64 v[160:163], v125 offset0:16 offset1:68
	ds_read_b64 v[178:179], v106
	ds_read_b64 v[180:181], v107
	;; [unrolled: 1-line block ×4, first 2 shown]
	ds_read2_b64 v[164:167], v125 offset0:120 offset1:172
	ds_read_b64 v[186:187], v110
	s_waitcnt lgkmcnt(0)
	; wave barrier
	s_waitcnt lgkmcnt(0)
	s_mov_b32 s0, 0xe8584caa
	s_mov_b32 s1, 0xbfebb67a
	;; [unrolled: 1-line block ×4, first 2 shown]
	s_waitcnt vmcnt(10)
	v_mul_f64 v[188:189], v[144:145], v[26:27]
	v_fmac_f64_e32 v[188:189], v[20:21], v[24:25]
	v_mul_f64 v[20:21], v[20:21], v[26:27]
	v_fma_f64 v[20:21], v[144:145], v[24:25], -v[20:21]
	v_mul_f64 v[144:145], v[146:147], v[26:27]
	v_fmac_f64_e32 v[144:145], v[22:23], v[24:25]
	v_mul_f64 v[22:23], v[22:23], v[26:27]
	s_waitcnt vmcnt(8)
	v_mul_f64 v[26:27], v[150:151], v[34:35]
	v_fmac_f64_e32 v[26:27], v[14:15], v[32:33]
	v_mul_f64 v[14:15], v[14:15], v[34:35]
	v_fma_f64 v[22:23], v[146:147], v[24:25], -v[22:23]
	v_mul_f64 v[24:25], v[148:149], v[30:31]
	v_fma_f64 v[14:15], v[150:151], v[32:33], -v[14:15]
	v_fmac_f64_e32 v[24:25], v[12:13], v[28:29]
	v_mul_f64 v[12:13], v[12:13], v[30:31]
	v_fma_f64 v[12:13], v[148:149], v[28:29], -v[12:13]
	s_waitcnt vmcnt(7)
	v_mul_f64 v[28:29], v[152:153], v[38:39]
	v_fmac_f64_e32 v[28:29], v[16:17], v[36:37]
	v_mul_f64 v[16:17], v[16:17], v[38:39]
	v_fma_f64 v[16:17], v[152:153], v[36:37], -v[16:17]
	v_add_f64 v[24:25], v[74:75], -v[24:25]
	s_waitcnt vmcnt(6)
	v_mul_f64 v[30:31], v[154:155], v[42:43]
	s_waitcnt vmcnt(5)
	v_mul_f64 v[32:33], v[156:157], v[50:51]
	v_fmac_f64_e32 v[32:33], v[4:5], v[48:49]
	v_mul_f64 v[4:5], v[4:5], v[50:51]
	s_waitcnt vmcnt(4)
	v_mul_f64 v[34:35], v[158:159], v[54:55]
	v_fma_f64 v[4:5], v[156:157], v[48:49], -v[4:5]
	v_fmac_f64_e32 v[34:35], v[6:7], v[52:53]
	v_mul_f64 v[6:7], v[6:7], v[54:55]
	v_add_f64 v[48:49], v[86:87], -v[188:189]
	v_add_f64 v[50:51], v[44:45], -v[20:21]
	v_fma_f64 v[6:7], v[158:159], v[52:53], -v[6:7]
	v_fma_f64 v[20:21], v[86:87], 2.0, -v[48:49]
	v_fma_f64 v[52:53], v[44:45], 2.0, -v[50:51]
	v_add_f64 v[44:45], v[82:83], -v[144:145]
	s_waitcnt vmcnt(3)
	v_mul_f64 v[36:37], v[160:161], v[58:59]
	v_add_f64 v[54:55], v[64:65], -v[22:23]
	v_fma_f64 v[22:23], v[82:83], 2.0, -v[44:45]
	ds_write2_b64 v172, v[20:21], v[48:49] offset1:52
	ds_write2_b64 v172, v[22:23], v[44:45] offset0:104 offset1:156
	v_lshl_add_u32 v20, v113, 3, 0
	v_fmac_f64_e32 v[36:37], v[8:9], v[56:57]
	v_mul_f64 v[8:9], v[8:9], v[58:59]
	v_add_f64 v[58:59], v[76:77], -v[12:13]
	v_fma_f64 v[12:13], v[74:75], 2.0, -v[24:25]
	v_add_u32_e32 v48, 0x400, v20
	ds_write2_b64 v48, v[12:13], v[24:25] offset0:80 offset1:132
	v_lshl_add_u32 v12, v115, 3, 0
	v_fmac_f64_e32 v[30:31], v[18:19], v[40:41]
	v_mul_f64 v[18:19], v[18:19], v[42:43]
	s_waitcnt vmcnt(0)
	v_mul_f64 v[42:43], v[166:167], v[102:103]
	v_add_u32_e32 v49, 0x800, v12
	v_lshl_add_u32 v12, v129, 3, 0
	v_fmac_f64_e32 v[42:43], v[2:3], v[100:101]
	v_mul_f64 v[2:3], v[2:3], v[102:103]
	v_add_u32_e32 v102, 0x800, v12
	v_lshl_add_u32 v12, v133, 3, 0
	v_add_f64 v[32:33], v[70:71], -v[32:33]
	v_add_u32_e32 v103, 0x1000, v12
	v_lshl_add_u32 v12, v137, 3, 0
	v_add_f64 v[86:87], v[176:177], -v[4:5]
	v_fma_f64 v[4:5], v[70:71], 2.0, -v[32:33]
	v_add_u32_e32 v113, 0x1000, v12
	ds_write2_b64 v113, v[4:5], v[32:33] offset0:112 offset1:164
	v_lshl_add_u32 v4, v143, 3, 0
	v_fma_f64 v[18:19], v[154:155], v[40:41], -v[18:19]
	v_mul_f64 v[40:41], v[164:165], v[98:99]
	v_add_u32_e32 v115, 0x1400, v4
	v_lshl_add_u32 v4, v175, 3, 0
	v_fmac_f64_e32 v[40:41], v[0:1], v[96:97]
	v_mul_f64 v[0:1], v[0:1], v[98:99]
	v_add_u32_e32 v129, 0x1800, v4
	v_lshl_add_u32 v4, v190, 3, 0
	v_mul_f64 v[38:39], v[162:163], v[90:91]
	v_fma_f64 v[0:1], v[164:165], v[96:97], -v[0:1]
	v_add_f64 v[40:41], v[66:67], -v[40:41]
	v_add_u32_e32 v133, 0x1800, v4
	v_lshl_add_u32 v4, v191, 3, 0
	v_fmac_f64_e32 v[38:39], v[10:11], v[88:89]
	v_mul_f64 v[10:11], v[10:11], v[90:91]
	v_add_f64 v[98:99], v[184:185], -v[0:1]
	v_fma_f64 v[0:1], v[66:67], 2.0, -v[40:41]
	v_add_u32_e32 v137, 0x2000, v4
	v_fma_f64 v[8:9], v[160:161], v[56:57], -v[8:9]
	v_fma_f64 v[10:11], v[162:163], v[88:89], -v[10:11]
	;; [unrolled: 1-line block ×3, first 2 shown]
	v_fma_f64 v[56:57], v[64:65], 2.0, -v[54:55]
	v_fma_f64 v[64:65], v[76:77], 2.0, -v[58:59]
	v_add_f64 v[26:27], v[68:69], -v[26:27]
	v_add_f64 v[28:29], v[84:85], -v[28:29]
	;; [unrolled: 1-line block ×8, first 2 shown]
	ds_write2_b64 v137, v[0:1], v[40:41] offset0:16 offset1:68
	v_lshl_add_u32 v0, v192, 3, 0
	v_add_f64 v[74:75], v[104:105], -v[14:15]
	v_fma_f64 v[14:15], v[68:69], 2.0, -v[26:27]
	v_fma_f64 v[16:17], v[84:85], 2.0, -v[28:29]
	;; [unrolled: 1-line block ×3, first 2 shown]
	v_add_f64 v[84:85], v[170:171], -v[18:19]
	v_fma_f64 v[18:19], v[78:79], 2.0, -v[30:31]
	v_add_f64 v[88:89], v[178:179], -v[6:7]
	v_fma_f64 v[6:7], v[62:63], 2.0, -v[34:35]
	;; [unrolled: 2-line block ×5, first 2 shown]
	v_add_u32_e32 v143, 0x2000, v0
	v_add_u32_e32 v156, 0xc00, v172
	;; [unrolled: 1-line block ×3, first 2 shown]
	v_fma_f64 v[68:69], v[104:105], 2.0, -v[74:75]
	v_fma_f64 v[78:79], v[170:171], 2.0, -v[84:85]
	;; [unrolled: 1-line block ×8, first 2 shown]
	ds_write2_b64 v49, v[14:15], v[26:27] offset0:56 offset1:108
	ds_write2_b64 v102, v[16:17], v[28:29] offset0:160 offset1:212
	;; [unrolled: 1-line block ×7, first 2 shown]
	s_waitcnt lgkmcnt(0)
	; wave barrier
	s_waitcnt lgkmcnt(0)
	ds_read_b64 v[32:33], v172
	ds_read2_b64 v[0:3], v123 offset0:12 offset1:64
	ds_read2_b64 v[24:27], v156 offset0:84 offset1:136
	;; [unrolled: 1-line block ×3, first 2 shown]
	ds_read_b64 v[34:35], v174
	ds_read2_b64 v[16:19], v111 offset0:60 offset1:112
	ds_read2_b64 v[12:15], v168 offset0:92 offset1:144
	;; [unrolled: 1-line block ×4, first 2 shown]
	ds_read_b64 v[40:41], v92
	ds_read_b64 v[38:39], v93
	ds_read_b64 v[36:37], v94
	ds_read_b64 v[30:31], v95
	ds_read_b64 v[104:105], v107
	ds_read_b64 v[28:29], v106
	ds_read_b64 v[42:43], v173
	ds_read_b64 v[44:45], v172 offset:9568
	s_waitcnt lgkmcnt(0)
	; wave barrier
	s_waitcnt lgkmcnt(0)
	ds_write2_b64 v172, v[52:53], v[50:51] offset1:52
	ds_write2_b64 v172, v[56:57], v[54:55] offset0:104 offset1:156
	ds_write2_b64 v48, v[64:65], v[58:59] offset0:80 offset1:132
	;; [unrolled: 1-line block ×11, first 2 shown]
	v_mov_b32_e32 v115, v117
	v_lshl_add_u64 v[48:49], v[114:115], 4, s[8:9]
	s_waitcnt lgkmcnt(0)
	; wave barrier
	s_waitcnt lgkmcnt(0)
	global_load_dwordx4 v[64:67], v[48:49], off offset:1632
	global_load_dwordx4 v[68:71], v[48:49], off offset:1648
	v_mov_b32_e32 v113, v117
	v_lshl_add_u64 v[48:49], v[112:113], 4, s[8:9]
	global_load_dwordx4 v[72:75], v[48:49], off offset:1632
	global_load_dwordx4 v[76:79], v[48:49], off offset:1648
	v_lshrrev_b32_e32 v48, 21, v127
	v_mul_lo_u16_e32 v48, 0x68, v48
	v_sub_u16_e32 v127, v138, v48
	v_lshlrev_b32_e32 v48, 5, v127
	global_load_dwordx4 v[80:83], v48, s[8:9] offset:1632
	global_load_dwordx4 v[84:87], v48, s[8:9] offset:1648
	v_lshrrev_b32_e32 v48, 21, v131
	v_mul_lo_u16_e32 v48, 0x68, v48
	v_sub_u16_e32 v129, v142, v48
	v_lshlrev_b32_e32 v48, 5, v129
	global_load_dwordx4 v[88:91], v48, s[8:9] offset:1632
	global_load_dwordx4 v[96:99], v48, s[8:9] offset:1648
	;; [unrolled: 6-line block ×4, first 2 shown]
	ds_read_b64 v[48:49], v172
	ds_read_b64 v[184:185], v107
	ds_read2_b64 v[152:155], v123 offset0:12 offset1:64
	ds_read2_b64 v[156:159], v156 offset0:84 offset1:136
	ds_read2_b64 v[160:163], v123 offset0:116 offset1:168
	ds_read_b64 v[52:53], v174
	ds_read2_b64 v[164:167], v111 offset0:60 offset1:112
	ds_read2_b64 v[168:171], v168 offset0:92 offset1:144
	;; [unrolled: 1-line block ×4, first 2 shown]
	ds_read_b64 v[60:61], v92
	ds_read_b64 v[58:59], v93
	;; [unrolled: 1-line block ×6, first 2 shown]
	ds_read_b64 v[186:187], v172 offset:9568
	s_waitcnt lgkmcnt(0)
	; wave barrier
	s_waitcnt lgkmcnt(0)
	v_mov_b32_e32 v135, v117
	v_mov_b32_e32 v137, v117
	v_mov_b32_e32 v139, v117
	v_mov_b32_e32 v143, v117
	s_waitcnt vmcnt(11)
	v_mul_f64 v[188:189], v[184:185], v[66:67]
	v_fmac_f64_e32 v[188:189], v[104:105], v[64:65]
	v_mul_f64 v[104:105], v[104:105], v[66:67]
	v_fma_f64 v[104:105], v[184:185], v[64:65], -v[104:105]
	s_waitcnt vmcnt(10)
	v_mul_f64 v[184:185], v[154:155], v[70:71]
	v_fmac_f64_e32 v[184:185], v[2:3], v[68:69]
	v_mul_f64 v[2:3], v[2:3], v[70:71]
	v_fma_f64 v[2:3], v[154:155], v[68:69], -v[2:3]
	s_waitcnt vmcnt(9)
	v_mul_f64 v[154:155], v[156:157], v[74:75]
	v_fmac_f64_e32 v[154:155], v[24:25], v[72:73]
	v_mul_f64 v[24:25], v[24:25], v[74:75]
	v_fma_f64 v[24:25], v[156:157], v[72:73], -v[24:25]
	s_waitcnt vmcnt(8)
	v_mul_f64 v[156:157], v[160:161], v[78:79]
	v_fmac_f64_e32 v[156:157], v[20:21], v[76:77]
	v_mul_f64 v[20:21], v[20:21], v[78:79]
	v_fma_f64 v[20:21], v[160:161], v[76:77], -v[20:21]
	v_mul_f64 v[160:161], v[158:159], v[66:67]
	v_fmac_f64_e32 v[160:161], v[26:27], v[64:65]
	v_mul_f64 v[26:27], v[26:27], v[66:67]
	v_mul_f64 v[66:67], v[164:165], v[74:75]
	v_fmac_f64_e32 v[66:67], v[16:17], v[72:73]
	v_mul_f64 v[16:17], v[16:17], v[74:75]
	s_waitcnt vmcnt(5)
	v_mul_f64 v[74:75], v[176:177], v[90:91]
	v_fma_f64 v[26:27], v[158:159], v[64:65], -v[26:27]
	v_mul_f64 v[64:65], v[162:163], v[70:71]
	v_fmac_f64_e32 v[74:75], v[8:9], v[88:89]
	v_mul_f64 v[8:9], v[8:9], v[90:91]
	v_fmac_f64_e32 v[64:65], v[22:23], v[68:69]
	v_mul_f64 v[22:23], v[22:23], v[70:71]
	v_fma_f64 v[16:17], v[164:165], v[72:73], -v[16:17]
	v_mul_f64 v[72:73], v[170:171], v[86:87]
	v_fma_f64 v[8:9], v[176:177], v[88:89], -v[8:9]
	v_add_f64 v[88:89], v[188:189], v[184:185]
	v_fma_f64 v[22:23], v[162:163], v[68:69], -v[22:23]
	v_mul_f64 v[68:69], v[168:169], v[78:79]
	v_fmac_f64_e32 v[72:73], v[14:15], v[84:85]
	v_mul_f64 v[14:15], v[14:15], v[86:87]
	v_add_f64 v[86:87], v[32:33], v[188:189]
	v_fmac_f64_e32 v[32:33], -0.5, v[88:89]
	v_add_f64 v[88:89], v[104:105], -v[2:3]
	v_fmac_f64_e32 v[68:69], v[12:13], v[76:77]
	v_mul_f64 v[12:13], v[12:13], v[78:79]
	v_fma_f64 v[90:91], s[0:1], v[88:89], v[32:33]
	v_fmac_f64_e32 v[32:33], s[4:5], v[88:89]
	v_add_f64 v[88:89], v[48:49], v[104:105]
	v_fma_f64 v[12:13], v[168:169], v[76:77], -v[12:13]
	s_waitcnt vmcnt(4)
	v_mul_f64 v[76:77], v[180:181], v[98:99]
	v_add_f64 v[88:89], v[88:89], v[2:3]
	v_add_f64 v[2:3], v[104:105], v[2:3]
	v_fmac_f64_e32 v[76:77], v[4:5], v[96:97]
	v_mul_f64 v[4:5], v[4:5], v[98:99]
	s_waitcnt vmcnt(3)
	v_mul_f64 v[78:79], v[178:179], v[102:103]
	v_fmac_f64_e32 v[48:49], -0.5, v[2:3]
	v_add_f64 v[2:3], v[188:189], -v[184:185]
	v_add_f64 v[98:99], v[154:155], v[156:157]
	v_fma_f64 v[4:5], v[180:181], v[96:97], -v[4:5]
	v_fmac_f64_e32 v[78:79], v[10:11], v[100:101]
	v_mul_f64 v[10:11], v[10:11], v[102:103]
	v_fma_f64 v[96:97], s[4:5], v[2:3], v[48:49]
	v_fmac_f64_e32 v[48:49], s[0:1], v[2:3]
	v_add_f64 v[2:3], v[42:43], v[154:155]
	v_fmac_f64_e32 v[42:43], -0.5, v[98:99]
	v_add_f64 v[98:99], v[24:25], -v[20:21]
	v_fma_f64 v[10:11], v[178:179], v[100:101], -v[10:11]
	v_fma_f64 v[100:101], s[0:1], v[98:99], v[42:43]
	v_fmac_f64_e32 v[42:43], s[4:5], v[98:99]
	v_add_f64 v[98:99], v[62:63], v[24:25]
	v_mul_f64 v[70:71], v[166:167], v[82:83]
	v_add_f64 v[98:99], v[98:99], v[20:21]
	v_add_f64 v[20:21], v[24:25], v[20:21]
	v_fmac_f64_e32 v[70:71], v[18:19], v[80:81]
	v_mul_f64 v[18:19], v[18:19], v[82:83]
	v_fmac_f64_e32 v[62:63], -0.5, v[20:21]
	v_add_f64 v[20:21], v[154:155], -v[156:157]
	v_add_f64 v[24:25], v[160:161], v[64:65]
	v_fma_f64 v[18:19], v[166:167], v[80:81], -v[18:19]
	s_waitcnt vmcnt(2)
	v_mul_f64 v[80:81], v[182:183], v[114:115]
	v_fma_f64 v[102:103], s[4:5], v[20:21], v[62:63]
	v_fmac_f64_e32 v[62:63], s[0:1], v[20:21]
	v_add_f64 v[20:21], v[34:35], v[160:161]
	v_fmac_f64_e32 v[34:35], -0.5, v[24:25]
	v_add_f64 v[24:25], v[26:27], -v[22:23]
	v_fmac_f64_e32 v[80:81], v[6:7], v[112:113]
	v_mul_f64 v[6:7], v[6:7], v[114:115]
	v_fma_f64 v[104:105], s[0:1], v[24:25], v[34:35]
	v_fmac_f64_e32 v[34:35], s[4:5], v[24:25]
	v_add_f64 v[24:25], v[52:53], v[26:27]
	v_fma_f64 v[6:7], v[182:183], v[112:113], -v[6:7]
	v_add_f64 v[112:113], v[24:25], v[22:23]
	v_add_f64 v[22:23], v[26:27], v[22:23]
	v_fmac_f64_e32 v[52:53], -0.5, v[22:23]
	v_add_f64 v[22:23], v[160:161], -v[64:65]
	v_add_f64 v[24:25], v[66:67], v[68:69]
	s_waitcnt vmcnt(1)
	v_mul_f64 v[82:83], v[152:153], v[146:147]
	v_fma_f64 v[114:115], s[4:5], v[22:23], v[52:53]
	v_fmac_f64_e32 v[52:53], s[0:1], v[22:23]
	v_add_f64 v[22:23], v[40:41], v[66:67]
	v_fmac_f64_e32 v[40:41], -0.5, v[24:25]
	v_add_f64 v[24:25], v[16:17], -v[12:13]
	v_fmac_f64_e32 v[82:83], v[0:1], v[144:145]
	v_mul_f64 v[0:1], v[0:1], v[146:147]
	v_fma_f64 v[26:27], s[0:1], v[24:25], v[40:41]
	v_fmac_f64_e32 v[40:41], s[4:5], v[24:25]
	v_add_f64 v[24:25], v[60:61], v[16:17]
	v_fma_f64 v[0:1], v[152:153], v[144:145], -v[0:1]
	v_add_f64 v[144:145], v[24:25], v[12:13]
	v_add_f64 v[12:13], v[16:17], v[12:13]
	v_fma_f64 v[14:15], v[170:171], v[84:85], -v[14:15]
	v_fmac_f64_e32 v[60:61], -0.5, v[12:13]
	v_add_f64 v[12:13], v[66:67], -v[68:69]
	v_add_f64 v[16:17], v[70:71], v[72:73]
	s_waitcnt vmcnt(0)
	v_mul_f64 v[84:85], v[186:187], v[150:151]
	v_fma_f64 v[146:147], s[4:5], v[12:13], v[60:61]
	v_fmac_f64_e32 v[60:61], s[0:1], v[12:13]
	v_add_f64 v[12:13], v[38:39], v[70:71]
	v_fmac_f64_e32 v[38:39], -0.5, v[16:17]
	v_add_f64 v[16:17], v[18:19], -v[14:15]
	v_fmac_f64_e32 v[84:85], v[44:45], v[148:149]
	v_mul_f64 v[44:45], v[44:45], v[150:151]
	v_fma_f64 v[24:25], s[0:1], v[16:17], v[38:39]
	v_fmac_f64_e32 v[38:39], s[4:5], v[16:17]
	v_add_f64 v[16:17], v[58:59], v[18:19]
	v_fma_f64 v[44:45], v[186:187], v[148:149], -v[44:45]
	v_add_f64 v[148:149], v[16:17], v[14:15]
	v_add_f64 v[14:15], v[18:19], v[14:15]
	v_fmac_f64_e32 v[58:59], -0.5, v[14:15]
	v_add_f64 v[14:15], v[70:71], -v[72:73]
	v_add_f64 v[16:17], v[74:75], v[76:77]
	v_fma_f64 v[150:151], s[4:5], v[14:15], v[58:59]
	v_fmac_f64_e32 v[58:59], s[0:1], v[14:15]
	v_add_f64 v[14:15], v[36:37], v[74:75]
	v_fmac_f64_e32 v[36:37], -0.5, v[16:17]
	v_add_f64 v[16:17], v[8:9], -v[4:5]
	v_fma_f64 v[18:19], s[0:1], v[16:17], v[36:37]
	v_fmac_f64_e32 v[36:37], s[4:5], v[16:17]
	v_add_f64 v[16:17], v[56:57], v[8:9]
	v_add_f64 v[152:153], v[16:17], v[4:5]
	;; [unrolled: 1-line block ×4, first 2 shown]
	v_fmac_f64_e32 v[56:57], -0.5, v[4:5]
	v_add_f64 v[4:5], v[74:75], -v[76:77]
	v_add_f64 v[8:9], v[78:79], v[80:81]
	v_add_f64 v[2:3], v[2:3], v[156:157]
	;; [unrolled: 1-line block ×4, first 2 shown]
	v_fma_f64 v[76:77], s[4:5], v[4:5], v[56:57]
	v_fmac_f64_e32 v[56:57], s[0:1], v[4:5]
	v_add_f64 v[4:5], v[30:31], v[78:79]
	v_fmac_f64_e32 v[30:31], -0.5, v[8:9]
	v_add_f64 v[8:9], v[10:11], -v[6:7]
	ds_write2_b64 v172, v[86:87], v[90:91] offset1:104
	ds_write_b64 v172, v[32:33] offset:1664
	ds_write2_b64 v173, v[2:3], v[100:101] offset1:104
	ds_write_b64 v173, v[42:43] offset:1664
	v_add_u32_e32 v32, 0x800, v172
	v_add_f64 v[22:23], v[22:23], v[68:69]
	v_fma_f64 v[16:17], s[0:1], v[8:9], v[30:31]
	v_fmac_f64_e32 v[30:31], s[4:5], v[8:9]
	v_add_f64 v[8:9], v[54:55], v[10:11]
	ds_write2_b64 v32, v[20:21], v[104:105] offset0:56 offset1:160
	ds_write_b64 v172, v[34:35] offset:4160
	v_add_u32_e32 v20, 0x800, v173
	v_lshl_add_u32 v21, v127, 3, 0
	v_add_f64 v[12:13], v[12:13], v[72:73]
	v_add_f64 v[154:155], v[8:9], v[6:7]
	v_add_f64 v[6:7], v[10:11], v[6:7]
	ds_write2_b64 v20, v[22:23], v[26:27] offset0:56 offset1:160
	ds_write_b64 v173, v[40:41] offset:4160
	v_add_u32_e32 v22, 0x1000, v21
	v_fmac_f64_e32 v[54:55], -0.5, v[6:7]
	v_add_f64 v[6:7], v[78:79], -v[80:81]
	v_add_f64 v[8:9], v[82:83], v[84:85]
	ds_write2_b64 v22, v[12:13], v[24:25] offset0:112 offset1:216
	ds_write_b64 v21, v[38:39] offset:6656
	v_lshl_add_u32 v12, v129, 3, 0
	v_fma_f64 v[78:79], s[4:5], v[6:7], v[54:55]
	v_fmac_f64_e32 v[54:55], s[0:1], v[6:7]
	v_add_f64 v[6:7], v[28:29], v[82:83]
	v_fmac_f64_e32 v[28:29], -0.5, v[8:9]
	v_add_f64 v[8:9], v[0:1], -v[44:45]
	v_add_u32_e32 v13, 0x1000, v12
	v_fma_f64 v[10:11], s[0:1], v[8:9], v[28:29]
	v_fmac_f64_e32 v[28:29], s[4:5], v[8:9]
	v_add_f64 v[8:9], v[50:51], v[0:1]
	v_add_f64 v[0:1], v[0:1], v[44:45]
	ds_write2_b64 v13, v[14:15], v[18:19] offset0:112 offset1:216
	ds_write_b64 v12, v[36:37] offset:6656
	v_lshl_add_u32 v14, v131, 3, 0
	v_lshl_add_u32 v23, v133, 3, 0
	v_add_f64 v[4:5], v[4:5], v[80:81]
	v_add_f64 v[6:7], v[6:7], v[84:85]
	v_fmac_f64_e32 v[50:51], -0.5, v[0:1]
	v_add_f64 v[0:1], v[82:83], -v[84:85]
	v_add_u32_e32 v15, 0x1c00, v14
	v_add_u32_e32 v33, 0x1c00, v23
	v_add_f64 v[80:81], v[8:9], v[44:45]
	v_fma_f64 v[82:83], s[4:5], v[0:1], v[50:51]
	v_fmac_f64_e32 v[50:51], s[0:1], v[0:1]
	ds_write2_b64 v15, v[4:5], v[16:17] offset0:40 offset1:144
	ds_write_b64 v14, v[30:31] offset:9152
	ds_write2_b64 v33, v[6:7], v[10:11] offset0:40 offset1:144
	ds_write_b64 v23, v[28:29] offset:9152
	s_waitcnt lgkmcnt(0)
	; wave barrier
	s_waitcnt lgkmcnt(0)
	ds_read2_b64 v[34:37], v111 offset0:112 offset1:164
	ds_read2_b64 v[38:41], v141 offset0:88 offset1:140
	ds_read_b64 v[30:31], v172
	ds_read_b64 v[28:29], v173
	ds_read_b64 v[26:27], v174
	ds_read_b64 v[18:19], v92
	ds_read2_b64 v[42:45], v123 offset0:64 offset1:116
	ds_read2_b64 v[64:67], v123 offset0:168 offset1:220
	ds_read_b64 v[24:25], v93
	ds_read_b64 v[16:17], v94
	ds_read_b64 v[10:11], v95
	ds_read_b64 v[6:7], v106
	ds_read2_b64 v[68:71], v125 offset0:16 offset1:68
	ds_read2_b64 v[72:75], v125 offset0:120 offset1:172
	ds_read_b64 v[8:9], v107
	ds_read_b64 v[4:5], v108
	ds_read_b64 v[2:3], v109
	ds_read_b64 v[0:1], v110
	s_waitcnt lgkmcnt(0)
	; wave barrier
	s_waitcnt lgkmcnt(0)
	ds_write2_b64 v172, v[88:89], v[96:97] offset1:104
	ds_write_b64 v172, v[48:49] offset:1664
	ds_write2_b64 v173, v[98:99], v[102:103] offset1:104
	ds_write_b64 v173, v[62:63] offset:1664
	ds_write2_b64 v32, v[112:113], v[114:115] offset0:56 offset1:160
	ds_write_b64 v172, v[52:53] offset:4160
	ds_write2_b64 v20, v[144:145], v[146:147] offset0:56 offset1:160
	;; [unrolled: 2-line block ×6, first 2 shown]
	ds_write_b64 v23, v[50:51] offset:9152
	v_add_co_u32_e64 v12, s[0:1], s33, v46
	v_mov_b32_e32 v133, v117
	s_nop 0
	v_addc_co_u32_e64 v13, s[0:1], 0, v47, s[0:1]
	v_lshl_add_u64 v[32:33], v[132:133], 4, s[8:9]
	v_add_co_u32_e64 v14, s[0:1], s33, v32
	v_lshl_add_u64 v[20:21], v[134:135], 4, s[8:9]
	s_nop 0
	v_addc_co_u32_e64 v15, s[0:1], 0, v33, s[0:1]
	s_waitcnt lgkmcnt(0)
	; wave barrier
	s_waitcnt lgkmcnt(0)
	global_load_dwordx4 v[48:51], v[12:13], off offset:864
	global_load_dwordx4 v[52:55], v[14:15], off offset:864
	v_add_co_u32_e64 v14, s[0:1], s33, v20
	v_lshl_add_u64 v[12:13], v[136:137], 4, s[8:9]
	s_nop 0
	v_addc_co_u32_e64 v15, s[0:1], 0, v21, s[0:1]
	v_add_co_u32_e64 v22, s[0:1], s33, v12
	s_nop 1
	v_addc_co_u32_e64 v23, s[0:1], 0, v13, s[0:1]
	global_load_dwordx4 v[56:59], v[14:15], off offset:864
	global_load_dwordx4 v[60:63], v[22:23], off offset:864
	v_lshl_add_u64 v[14:15], v[138:139], 4, s[8:9]
	v_add_co_u32_e64 v22, s[0:1], s33, v14
	s_nop 1
	v_addc_co_u32_e64 v23, s[0:1], 0, v15, s[0:1]
	global_load_dwordx4 v[76:79], v[22:23], off offset:864
	v_lshl_add_u64 v[22:23], v[142:143], 4, s[8:9]
	v_add_co_u32_e64 v80, s[0:1], s33, v22
	s_nop 1
	v_addc_co_u32_e64 v81, s[0:1], 0, v23, s[0:1]
	global_load_dwordx4 v[80:83], v[80:81], off offset:864
	ds_read2_b64 v[84:87], v111 offset0:112 offset1:164
	ds_read2_b64 v[88:91], v141 offset0:88 offset1:140
	ds_read_b64 v[104:105], v172
	ds_read_b64 v[136:137], v173
	ds_read_b64 v[138:139], v174
	ds_read_b64 v[142:143], v92
	ds_read2_b64 v[96:99], v123 offset0:64 offset1:116
	ds_read2_b64 v[100:103], v123 offset0:168 offset1:220
	ds_read_b64 v[144:145], v93
	ds_read_b64 v[146:147], v94
	ds_read_b64 v[148:149], v95
	ds_read_b64 v[150:151], v106
	;; [unrolled: 6-line block ×3, first 2 shown]
	s_waitcnt lgkmcnt(0)
	; wave barrier
	s_waitcnt vmcnt(5) lgkmcnt(0)
	v_mul_f64 v[160:161], v[84:85], v[50:51]
	v_fmac_f64_e32 v[160:161], v[34:35], v[48:49]
	v_mul_f64 v[34:35], v[34:35], v[50:51]
	v_fma_f64 v[34:35], v[84:85], v[48:49], -v[34:35]
	s_waitcnt vmcnt(4)
	v_mul_f64 v[84:85], v[86:87], v[54:55]
	v_fmac_f64_e32 v[84:85], v[36:37], v[52:53]
	v_mul_f64 v[36:37], v[36:37], v[54:55]
	v_fma_f64 v[36:37], v[86:87], v[52:53], -v[36:37]
	s_waitcnt vmcnt(3)
	;; [unrolled: 5-line block ×4, first 2 shown]
	v_mul_f64 v[90:91], v[96:97], v[78:79]
	v_fmac_f64_e32 v[90:91], v[42:43], v[76:77]
	v_mul_f64 v[42:43], v[42:43], v[78:79]
	v_fma_f64 v[42:43], v[96:97], v[76:77], -v[42:43]
	v_add_f64 v[42:43], v[144:145], -v[42:43]
	s_waitcnt vmcnt(0)
	v_mul_f64 v[96:97], v[98:99], v[82:83]
	v_fmac_f64_e32 v[96:97], v[44:45], v[80:81]
	v_mul_f64 v[44:45], v[44:45], v[82:83]
	v_fma_f64 v[44:45], v[98:99], v[80:81], -v[44:45]
	v_mul_f64 v[98:99], v[100:101], v[50:51]
	v_mul_f64 v[50:51], v[64:65], v[50:51]
	v_fmac_f64_e32 v[98:99], v[64:65], v[48:49]
	v_fma_f64 v[48:49], v[100:101], v[48:49], -v[50:51]
	v_mul_f64 v[50:51], v[102:103], v[54:55]
	v_mul_f64 v[54:55], v[66:67], v[54:55]
	v_fmac_f64_e32 v[50:51], v[66:67], v[52:53]
	;; [unrolled: 4-line block ×4, first 2 shown]
	v_fma_f64 v[60:61], v[114:115], v[60:61], -v[62:63]
	v_mul_f64 v[62:63], v[132:133], v[78:79]
	v_mul_f64 v[64:65], v[72:73], v[78:79]
	v_mul_f64 v[66:67], v[134:135], v[82:83]
	v_fmac_f64_e32 v[62:63], v[72:73], v[76:77]
	v_fma_f64 v[64:65], v[132:133], v[76:77], -v[64:65]
	v_fmac_f64_e32 v[66:67], v[74:75], v[80:81]
	v_mul_f64 v[68:69], v[74:75], v[82:83]
	v_add_f64 v[76:77], v[104:105], -v[34:35]
	v_fma_f64 v[68:69], v[134:135], v[80:81], -v[68:69]
	v_add_f64 v[70:71], v[30:31], -v[160:161]
	v_fma_f64 v[78:79], v[104:105], 2.0, -v[76:77]
	v_add_f64 v[34:35], v[28:29], -v[84:85]
	v_add_f64 v[80:81], v[136:137], -v[36:37]
	;; [unrolled: 1-line block ×16, first 2 shown]
	v_fma_f64 v[30:31], v[30:31], 2.0, -v[70:71]
	v_fma_f64 v[28:29], v[28:29], 2.0, -v[34:35]
	;; [unrolled: 1-line block ×7, first 2 shown]
	v_add_f64 v[54:55], v[8:9], -v[54:55]
	v_fma_f64 v[4:5], v[4:5], 2.0, -v[56:57]
	v_fma_f64 v[2:3], v[2:3], 2.0, -v[62:63]
	;; [unrolled: 1-line block ×5, first 2 shown]
	v_add_f64 v[134:135], v[158:159], -v[68:69]
	ds_write_b64 v172, v[30:31]
	ds_write_b64 v172, v[70:71] offset:2496
	ds_write_b64 v173, v[28:29]
	ds_write_b64 v173, v[34:35] offset:2496
	;; [unrolled: 2-line block ×6, first 2 shown]
	ds_write_b64 v172, v[10:11] offset:4992
	ds_write_b64 v172, v[74:75] offset:7488
	;; [unrolled: 1-line block ×12, first 2 shown]
	s_waitcnt lgkmcnt(0)
	; wave barrier
	s_waitcnt lgkmcnt(0)
	ds_read2_b64 v[0:3], v111 offset0:112 offset1:164
	ds_read2_b64 v[16:19], v141 offset0:88 offset1:140
	ds_read_b64 v[62:63], v172
	ds_read_b64 v[64:65], v173
	ds_read_b64 v[66:67], v174
	ds_read_b64 v[68:69], v92
	ds_read2_b64 v[24:27], v123 offset0:64 offset1:116
	ds_read2_b64 v[28:31], v123 offset0:168 offset1:220
	ds_read_b64 v[70:71], v93
	ds_read_b64 v[72:73], v94
	ds_read_b64 v[74:75], v95
	ds_read_b64 v[54:55], v106
	;; [unrolled: 6-line block ×3, first 2 shown]
	v_add_f64 v[44:45], v[146:147], -v[44:45]
	v_add_f64 v[50:51], v[150:151], -v[52:53]
	;; [unrolled: 1-line block ×3, first 2 shown]
	v_fma_f64 v[82:83], v[136:137], 2.0, -v[80:81]
	v_fma_f64 v[86:87], v[138:139], 2.0, -v[84:85]
	v_fma_f64 v[100:101], v[142:143], 2.0, -v[88:89]
	v_fma_f64 v[90:91], v[144:145], 2.0, -v[42:43]
	v_fma_f64 v[96:97], v[146:147], 2.0, -v[44:45]
	v_fma_f64 v[102:103], v[148:149], 2.0, -v[98:99]
	v_fma_f64 v[52:53], v[150:151], 2.0, -v[50:51]
	v_fma_f64 v[112:113], v[152:153], 2.0, -v[104:105]
	v_fma_f64 v[60:61], v[154:155], 2.0, -v[58:59]
	v_fma_f64 v[132:133], v[156:157], 2.0, -v[114:115]
	v_fma_f64 v[136:137], v[158:159], 2.0, -v[134:135]
	s_waitcnt lgkmcnt(0)
	; wave barrier
	s_waitcnt lgkmcnt(0)
	ds_write_b64 v172, v[78:79]
	ds_write_b64 v172, v[76:77] offset:2496
	ds_write_b64 v173, v[82:83]
	ds_write_b64 v173, v[80:81] offset:2496
	;; [unrolled: 2-line block ×6, first 2 shown]
	ds_write_b64 v172, v[102:103] offset:4992
	ds_write_b64 v172, v[98:99] offset:7488
	;; [unrolled: 1-line block ×12, first 2 shown]
	s_waitcnt lgkmcnt(0)
	; wave barrier
	s_waitcnt lgkmcnt(0)
	s_and_saveexec_b64 s[0:1], vcc
	s_cbranch_execz .LBB0_23
; %bb.22:
	v_mov_b32_e32 v141, v117
	v_lshl_add_u64 v[8:9], v[140:141], 4, s[8:9]
	v_add_co_u32_e32 v8, vcc, 0x2000, v8
	v_mov_b32_e32 v131, v117
	s_movk_i32 s0, 0x2000
	v_addc_co_u32_e32 v9, vcc, 0, v9, vcc
	v_lshl_add_u64 v[42:43], v[130:131], 4, s[8:9]
	v_add_co_u32_e32 v42, vcc, s0, v42
	global_load_dwordx4 v[8:11], v[8:9], off offset:1760
	s_nop 0
	v_addc_co_u32_e32 v43, vcc, 0, v43, vcc
	global_load_dwordx4 v[78:81], v[42:43], off offset:1760
	v_mov_b32_e32 v129, v117
	v_lshl_add_u64 v[42:43], v[128:129], 4, s[8:9]
	v_add_co_u32_e32 v42, vcc, s0, v42
	v_mov_b32_e32 v127, v117
	s_nop 0
	v_addc_co_u32_e32 v43, vcc, 0, v43, vcc
	global_load_dwordx4 v[42:45], v[42:43], off offset:1760
	v_lshl_add_u64 v[50:51], v[126:127], 4, s[8:9]
	v_add_co_u32_e32 v50, vcc, s0, v50
	v_mov_b32_e32 v125, v117
	s_nop 0
	v_addc_co_u32_e32 v51, vcc, 0, v51, vcc
	global_load_dwordx4 v[50:53], v[50:51], off offset:1760
	;; [unrolled: 6-line block ×3, first 2 shown]
	v_lshl_add_u64 v[82:83], v[122:123], 4, s[8:9]
	v_add_co_u32_e32 v82, vcc, s0, v82
	v_mul_lo_u32 v86, s3, v120
	s_nop 0
	v_addc_co_u32_e32 v83, vcc, 0, v83, vcc
	global_load_dwordx4 v[82:85], v[82:83], off offset:1760
	v_add_co_u32_e32 v22, vcc, s0, v22
	v_mul_lo_u32 v87, s2, v121
	v_mad_u64_u32 v[76:77], s[2:3], s2, v120, 0
	v_add_u32_e32 v96, 0x2000, v172
	v_addc_co_u32_e32 v23, vcc, 0, v23, vcc
	ds_read_b64 v[90:91], v110
	ds_read_b64 v[104:105], v109
	;; [unrolled: 1-line block ×3, first 2 shown]
	v_add3_u32 v77, v77, v87, v86
	ds_read2_b64 v[86:89], v96 offset0:120 offset1:172
	ds_read2_b64 v[96:99], v96 offset0:16 offset1:68
	global_load_dwordx4 v[100:103], v[22:23], off offset:1760
	v_add_co_u32_e32 v14, vcc, s0, v14
	s_movk_i32 s1, 0x4e0
	s_nop 0
	v_addc_co_u32_e32 v15, vcc, 0, v15, vcc
	v_add_co_u32_e32 v12, vcc, s0, v12
	s_waitcnt vmcnt(5) lgkmcnt(1)
	v_mul_f64 v[22:23], v[86:87], v[80:81]
	v_addc_co_u32_e32 v13, vcc, 0, v13, vcc
	global_load_dwordx4 v[108:111], v[14:15], off offset:1760
	global_load_dwordx4 v[112:115], v[12:13], off offset:1760
	v_add_co_u32_e32 v20, vcc, s0, v20
	v_mul_f64 v[12:13], v[6:7], v[10:11]
	v_mul_f64 v[10:11], v[88:89], v[10:11]
	;; [unrolled: 1-line block ×3, first 2 shown]
	v_addc_co_u32_e32 v21, vcc, 0, v21, vcc
	v_fma_f64 v[12:13], v[8:9], v[88:89], -v[12:13]
	v_fmac_f64_e32 v[10:11], v[6:7], v[8:9]
	v_fma_f64 v[8:9], v[78:79], v[86:87], -v[14:15]
	v_fmac_f64_e32 v[22:23], v[4:5], v[78:79]
	global_load_dwordx4 v[78:81], v[20:21], off offset:1760
	v_add_co_u32_e32 v32, vcc, s0, v32
	v_add_f64 v[6:7], v[90:91], -v[12:13]
	s_nop 0
	v_addc_co_u32_e32 v33, vcc, 0, v33, vcc
	global_load_dwordx4 v[86:89], v[32:33], off offset:1760
	v_add_f64 v[12:13], v[34:35], -v[22:23]
	v_fma_f64 v[20:21], v[34:35], 2.0, -v[12:13]
	s_waitcnt vmcnt(8)
	v_mul_f64 v[34:35], v[38:39], v[44:45]
	s_waitcnt lgkmcnt(0)
	v_mul_f64 v[32:33], v[98:99], v[44:45]
	v_fma_f64 v[34:35], v[42:43], v[98:99], -v[34:35]
	v_fmac_f64_e32 v[32:33], v[38:39], v[42:43]
	v_add_co_u32_e32 v42, vcc, s0, v46
	v_add_f64 v[4:5], v[40:41], -v[10:11]
	v_add_f64 v[34:35], v[120:121], -v[34:35]
	v_addc_co_u32_e32 v43, vcc, 0, v47, vcc
	v_add_f64 v[14:15], v[104:105], -v[8:9]
	v_fma_f64 v[8:9], v[40:41], 2.0, -v[4:5]
	v_fma_f64 v[40:41], v[120:121], 2.0, -v[34:35]
	global_load_dwordx4 v[120:123], v[42:43], off offset:1760
	v_fma_f64 v[10:11], v[90:91], 2.0, -v[6:7]
	ds_read_b64 v[90:91], v107
	s_waitcnt vmcnt(8)
	v_mul_f64 v[42:43], v[36:37], v[52:53]
	v_fma_f64 v[22:23], v[104:105], 2.0, -v[14:15]
	v_fma_f64 v[42:43], v[50:51], v[96:97], -v[42:43]
	v_add_u32_e32 v104, 0x1800, v172
	s_waitcnt lgkmcnt(0)
	v_add_f64 v[44:45], v[90:91], -v[42:43]
	v_mul_f64 v[42:43], v[96:97], v[52:53]
	ds_read2_b64 v[96:99], v104 offset0:168 offset1:220
	v_fmac_f64_e32 v[42:43], v[36:37], v[50:51]
	ds_read_b64 v[36:37], v106
	v_add_f64 v[32:33], v[48:49], -v[32:33]
	s_waitcnt vmcnt(7)
	v_mul_f64 v[50:51], v[30:31], v[60:61]
	v_fma_f64 v[38:39], v[48:49], 2.0, -v[32:33]
	v_fma_f64 v[48:49], v[90:91], 2.0, -v[44:45]
	s_waitcnt lgkmcnt(1)
	v_fma_f64 v[50:51], v[58:59], v[98:99], -v[50:51]
	ds_read_b64 v[90:91], v95
	v_add_f64 v[42:43], v[56:57], -v[42:43]
	s_waitcnt lgkmcnt(1)
	v_add_f64 v[52:53], v[36:37], -v[50:51]
	v_fma_f64 v[46:47], v[56:57], 2.0, -v[42:43]
	v_fma_f64 v[56:57], v[36:37], 2.0, -v[52:53]
	v_mul_f64 v[36:37], v[98:99], v[60:61]
	v_fmac_f64_e32 v[36:37], v[30:31], v[58:59]
	s_waitcnt vmcnt(6)
	v_mul_f64 v[30:31], v[28:29], v[84:85]
	v_fma_f64 v[30:31], v[82:83], v[96:97], -v[30:31]
	v_add_f64 v[50:51], v[54:55], -v[36:37]
	ds_read_b64 v[36:37], v94
	s_waitcnt lgkmcnt(1)
	v_add_f64 v[30:31], v[90:91], -v[30:31]
	v_fma_f64 v[60:61], v[90:91], 2.0, -v[30:31]
	ds_read_b64 v[90:91], v93
	v_mul_f64 v[58:59], v[96:97], v[84:85]
	ds_read2_b64 v[94:97], v104 offset0:64 offset1:116
	v_fmac_f64_e32 v[58:59], v[28:29], v[82:83]
	v_add_f64 v[28:29], v[74:75], -v[58:59]
	v_fma_f64 v[58:59], v[74:75], 2.0, -v[28:29]
	s_waitcnt vmcnt(5)
	v_mul_f64 v[74:75], v[26:27], v[102:103]
	s_waitcnt lgkmcnt(0)
	v_fma_f64 v[74:75], v[100:101], v[96:97], -v[74:75]
	v_add_f64 v[84:85], v[36:37], -v[74:75]
	v_fma_f64 v[74:75], v[36:37], 2.0, -v[84:85]
	v_mul_f64 v[36:37], v[96:97], v[102:103]
	v_fmac_f64_e32 v[36:37], v[26:27], v[100:101]
	v_add_f64 v[82:83], v[72:73], -v[36:37]
	ds_read_b64 v[102:103], v174
	ds_read_b64 v[106:107], v172
	s_waitcnt vmcnt(4)
	v_mul_f64 v[36:37], v[94:95], v[110:111]
	v_mul_f64 v[26:27], v[24:25], v[110:111]
	v_fmac_f64_e32 v[36:37], v[24:25], v[108:109]
	v_add_u32_e32 v24, 0x1400, v172
	ds_read2_b64 v[98:101], v24 offset0:88 offset1:140
	v_add_f64 v[24:25], v[70:71], -v[36:37]
	ds_read_b64 v[36:37], v92
	v_fma_f64 v[26:27], v[108:109], v[94:95], -v[26:27]
	v_fma_f64 v[94:95], v[70:71], 2.0, -v[24:25]
	s_waitcnt vmcnt(3)
	v_mul_f64 v[70:71], v[18:19], v[114:115]
	s_waitcnt lgkmcnt(1)
	v_fma_f64 v[70:71], v[112:113], v[100:101], -v[70:71]
	s_waitcnt lgkmcnt(0)
	v_add_f64 v[92:93], v[36:37], -v[70:71]
	v_fma_f64 v[70:71], v[36:37], 2.0, -v[92:93]
	v_mul_f64 v[36:37], v[100:101], v[114:115]
	v_fmac_f64_e32 v[36:37], v[18:19], v[112:113]
	s_waitcnt vmcnt(2)
	v_mul_f64 v[18:19], v[16:17], v[80:81]
	v_add_f64 v[26:27], v[90:91], -v[26:27]
	v_fma_f64 v[18:19], v[78:79], v[98:99], -v[18:19]
	v_fma_f64 v[96:97], v[90:91], 2.0, -v[26:27]
	v_add_f64 v[90:91], v[68:69], -v[36:37]
	ds_read_b64 v[36:37], v173
	v_add_f64 v[18:19], v[102:103], -v[18:19]
	v_mul_f64 v[80:81], v[98:99], v[80:81]
	v_add_u32_e32 v98, 0x1000, v172
	v_fma_f64 v[100:101], v[102:103], 2.0, -v[18:19]
	ds_read2_b64 v[102:105], v98 offset0:112 offset1:164
	v_fmac_f64_e32 v[80:81], v[16:17], v[78:79]
	v_add_f64 v[16:17], v[66:67], -v[80:81]
	v_fma_f64 v[98:99], v[66:67], 2.0, -v[16:17]
	s_waitcnt vmcnt(1)
	v_mul_f64 v[66:67], v[2:3], v[88:89]
	s_waitcnt lgkmcnt(0)
	v_fma_f64 v[66:67], v[86:87], v[104:105], -v[66:67]
	v_add_f64 v[80:81], v[36:37], -v[66:67]
	v_fma_f64 v[66:67], v[36:37], 2.0, -v[80:81]
	v_mul_f64 v[36:37], v[104:105], v[88:89]
	v_fmac_f64_e32 v[36:37], v[2:3], v[86:87]
	s_waitcnt vmcnt(0)
	v_mul_f64 v[2:3], v[0:1], v[122:123]
	v_fma_f64 v[2:3], v[120:121], v[102:103], -v[2:3]
	v_add_f64 v[88:89], v[106:107], -v[2:3]
	v_mul_f64 v[2:3], v[102:103], v[122:123]
	v_fmac_f64_e32 v[2:3], v[0:1], v[120:121]
	v_lshrrev_b32_e32 v0, 4, v116
	s_mov_b32 s0, 0x1a41a41b
	v_mul_hi_u32 v0, v0, s0
	v_lshrrev_b32_e32 v0, 2, v0
	v_mul_u32_u24_e32 v0, 0x270, v0
	v_add_f64 v[78:79], v[64:65], -v[36:37]
	v_sub_u32_e32 v36, v116, v0
	v_add_f64 v[86:87], v[62:63], -v[2:3]
	v_mad_u64_u32 v[2:3], s[2:3], s16, v36, 0
	v_mov_b32_e32 v0, v3
	v_mad_u64_u32 v[0:1], s[2:3], s17, v36, v[0:1]
	v_mov_b32_e32 v3, v0
	v_lshl_add_u64 v[0:1], v[76:77], 4, s[6:7]
	v_lshl_add_u64 v[0:1], v[118:119], 4, v[0:1]
	v_fma_f64 v[104:105], v[106:107], 2.0, -v[88:89]
	v_fma_f64 v[102:103], v[62:63], 2.0, -v[86:87]
	v_lshl_add_u64 v[2:3], v[2:3], 4, v[0:1]
	v_add_u32_e32 v37, 0x270, v36
	global_store_dwordx4 v[2:3], v[102:105], off
	v_mad_u64_u32 v[2:3], s[2:3], s16, v37, 0
	v_mov_b32_e32 v36, v3
	v_mad_u64_u32 v[36:37], s[2:3], s17, v37, v[36:37]
	v_mov_b32_e32 v3, v36
	v_lshl_add_u64 v[2:3], v[2:3], 4, v[0:1]
	global_store_dwordx4 v[2:3], v[86:89], off
	v_add_u32_e32 v2, 52, v116
	v_lshrrev_b32_e32 v3, 4, v2
	v_mul_hi_u32 v3, v3, s0
	v_lshrrev_b32_e32 v3, 2, v3
	v_mul_u32_u24_e32 v36, 0x270, v3
	v_sub_u32_e32 v2, v2, v36
	v_mad_u32_u24 v62, v3, s1, v2
	v_mad_u64_u32 v[2:3], s[2:3], s16, v62, 0
	v_mov_b32_e32 v36, v3
	v_mad_u64_u32 v[36:37], s[2:3], s17, v62, v[36:37]
	v_mov_b32_e32 v3, v36
	v_fma_f64 v[64:65], v[64:65], 2.0, -v[78:79]
	v_lshl_add_u64 v[2:3], v[2:3], 4, v[0:1]
	v_add_u32_e32 v37, 0x270, v62
	global_store_dwordx4 v[2:3], v[64:67], off
	v_mad_u64_u32 v[2:3], s[2:3], s16, v37, 0
	v_mov_b32_e32 v36, v3
	v_mad_u64_u32 v[36:37], s[2:3], s17, v37, v[36:37]
	v_mov_b32_e32 v3, v36
	v_lshl_add_u64 v[2:3], v[2:3], 4, v[0:1]
	global_store_dwordx4 v[2:3], v[78:81], off
	v_add_u32_e32 v2, 0x68, v116
	v_lshrrev_b32_e32 v3, 4, v2
	v_mul_hi_u32 v3, v3, s0
	v_lshrrev_b32_e32 v3, 2, v3
	v_mul_u32_u24_e32 v36, 0x270, v3
	v_sub_u32_e32 v2, v2, v36
	v_mad_u32_u24 v62, v3, s1, v2
	v_mad_u64_u32 v[2:3], s[2:3], s16, v62, 0
	v_mov_b32_e32 v36, v3
	v_mad_u64_u32 v[36:37], s[2:3], s17, v62, v[36:37]
	v_mov_b32_e32 v3, v36
	v_lshl_add_u64 v[2:3], v[2:3], 4, v[0:1]
	v_add_u32_e32 v37, 0x270, v62
	global_store_dwordx4 v[2:3], v[98:101], off
	v_mad_u64_u32 v[2:3], s[2:3], s16, v37, 0
	v_mov_b32_e32 v36, v3
	v_mad_u64_u32 v[36:37], s[2:3], s17, v37, v[36:37]
	v_mov_b32_e32 v3, v36
	v_lshl_add_u64 v[2:3], v[2:3], 4, v[0:1]
	global_store_dwordx4 v[2:3], v[16:19], off
	v_add_u32_e32 v2, 0x9c, v116
	v_lshrrev_b32_e32 v3, 4, v2
	v_mul_hi_u32 v3, v3, s0
	v_lshrrev_b32_e32 v3, 2, v3
	v_mul_u32_u24_e32 v16, 0x270, v3
	v_sub_u32_e32 v2, v2, v16
	v_mad_u32_u24 v18, v3, s1, v2
	v_mad_u64_u32 v[2:3], s[2:3], s16, v18, 0
	v_mov_b32_e32 v16, v3
	v_mad_u64_u32 v[16:17], s[2:3], s17, v18, v[16:17]
	v_mov_b32_e32 v3, v16
	v_fma_f64 v[68:69], v[68:69], 2.0, -v[90:91]
	v_lshl_add_u64 v[2:3], v[2:3], 4, v[0:1]
	v_add_u32_e32 v17, 0x270, v18
	global_store_dwordx4 v[2:3], v[68:71], off
	v_mad_u64_u32 v[2:3], s[2:3], s16, v17, 0
	v_mov_b32_e32 v16, v3
	v_mad_u64_u32 v[16:17], s[2:3], s17, v17, v[16:17]
	v_mov_b32_e32 v3, v16
	v_lshl_add_u64 v[2:3], v[2:3], 4, v[0:1]
	global_store_dwordx4 v[2:3], v[90:93], off
	v_add_u32_e32 v2, 0xd0, v116
	v_lshrrev_b32_e32 v3, 4, v2
	v_mul_hi_u32 v3, v3, s0
	v_lshrrev_b32_e32 v3, 2, v3
	v_mul_u32_u24_e32 v16, 0x270, v3
	v_sub_u32_e32 v2, v2, v16
	v_mad_u32_u24 v18, v3, s1, v2
	v_mad_u64_u32 v[2:3], s[2:3], s16, v18, 0
	v_mov_b32_e32 v16, v3
	v_mad_u64_u32 v[16:17], s[2:3], s17, v18, v[16:17]
	v_mov_b32_e32 v3, v16
	;; [unrolled: 41-line block ×4, first 2 shown]
	v_lshl_add_u64 v[2:3], v[2:3], 4, v[0:1]
	v_add_u32_e32 v17, 0x270, v18
	global_store_dwordx4 v[2:3], v[46:49], off
	v_mad_u64_u32 v[2:3], s[2:3], s16, v17, 0
	v_mov_b32_e32 v16, v3
	v_mad_u64_u32 v[16:17], s[2:3], s17, v17, v[16:17]
	v_mov_b32_e32 v3, v16
	v_lshl_add_u64 v[2:3], v[2:3], 4, v[0:1]
	global_store_dwordx4 v[2:3], v[42:45], off
	v_add_u32_e32 v2, 0x1d4, v116
	v_lshrrev_b32_e32 v3, 4, v2
	v_mul_hi_u32 v3, v3, s0
	v_lshrrev_b32_e32 v3, 2, v3
	v_mul_u32_u24_e32 v16, 0x270, v3
	v_sub_u32_e32 v2, v2, v16
	v_mad_u32_u24 v18, v3, s1, v2
	v_mad_u64_u32 v[2:3], s[2:3], s16, v18, 0
	v_mov_b32_e32 v16, v3
	v_mad_u64_u32 v[16:17], s[2:3], s17, v18, v[16:17]
	v_mov_b32_e32 v3, v16
	v_lshl_add_u64 v[2:3], v[2:3], 4, v[0:1]
	v_add_u32_e32 v17, 0x270, v18
	global_store_dwordx4 v[2:3], v[38:41], off
	v_mad_u64_u32 v[2:3], s[2:3], s16, v17, 0
	v_mov_b32_e32 v16, v3
	v_mad_u64_u32 v[16:17], s[2:3], s17, v17, v[16:17]
	v_mov_b32_e32 v3, v16
	v_lshl_add_u64 v[2:3], v[2:3], 4, v[0:1]
	global_store_dwordx4 v[2:3], v[32:35], off
	v_add_u32_e32 v2, 0x208, v116
	v_lshrrev_b32_e32 v3, 4, v2
	v_mul_hi_u32 v3, v3, s0
	v_lshrrev_b32_e32 v3, 2, v3
	v_mul_u32_u24_e32 v16, 0x270, v3
	v_sub_u32_e32 v2, v2, v16
	v_mad_u32_u24 v18, v3, s1, v2
	v_mad_u64_u32 v[2:3], s[2:3], s16, v18, 0
	v_mov_b32_e32 v16, v3
	v_mad_u64_u32 v[16:17], s[2:3], s17, v18, v[16:17]
	v_mov_b32_e32 v3, v16
	;; [unrolled: 20-line block ×3, first 2 shown]
	v_lshl_add_u64 v[2:3], v[2:3], 4, v[0:1]
	global_store_dwordx4 v[2:3], v[8:11], off
	s_nop 1
	v_add_u32_e32 v9, 0x270, v14
	v_mad_u64_u32 v[2:3], s[0:1], s16, v9, 0
	v_mov_b32_e32 v8, v3
	v_mad_u64_u32 v[8:9], s[0:1], s17, v9, v[8:9]
	v_mov_b32_e32 v3, v8
	v_lshl_add_u64 v[0:1], v[2:3], 4, v[0:1]
	global_store_dwordx4 v[0:1], v[4:7], off
.LBB0_23:
	s_endpgm
	.section	.rodata,"a",@progbits
	.p2align	6, 0x0
	.amdhsa_kernel fft_rtc_back_len1248_factors_2_2_13_2_3_2_2_wgs_52_tpt_52_halfLds_dp_op_CI_CI_sbrr_dirReg
		.amdhsa_group_segment_fixed_size 0
		.amdhsa_private_segment_fixed_size 0
		.amdhsa_kernarg_size 104
		.amdhsa_user_sgpr_count 2
		.amdhsa_user_sgpr_dispatch_ptr 0
		.amdhsa_user_sgpr_queue_ptr 0
		.amdhsa_user_sgpr_kernarg_segment_ptr 1
		.amdhsa_user_sgpr_dispatch_id 0
		.amdhsa_user_sgpr_kernarg_preload_length 0
		.amdhsa_user_sgpr_kernarg_preload_offset 0
		.amdhsa_user_sgpr_private_segment_size 0
		.amdhsa_uses_dynamic_stack 0
		.amdhsa_enable_private_segment 0
		.amdhsa_system_sgpr_workgroup_id_x 1
		.amdhsa_system_sgpr_workgroup_id_y 0
		.amdhsa_system_sgpr_workgroup_id_z 0
		.amdhsa_system_sgpr_workgroup_info 0
		.amdhsa_system_vgpr_workitem_id 0
		.amdhsa_next_free_vgpr 252
		.amdhsa_next_free_sgpr 50
		.amdhsa_accum_offset 252
		.amdhsa_reserve_vcc 1
		.amdhsa_float_round_mode_32 0
		.amdhsa_float_round_mode_16_64 0
		.amdhsa_float_denorm_mode_32 3
		.amdhsa_float_denorm_mode_16_64 3
		.amdhsa_dx10_clamp 1
		.amdhsa_ieee_mode 1
		.amdhsa_fp16_overflow 0
		.amdhsa_tg_split 0
		.amdhsa_exception_fp_ieee_invalid_op 0
		.amdhsa_exception_fp_denorm_src 0
		.amdhsa_exception_fp_ieee_div_zero 0
		.amdhsa_exception_fp_ieee_overflow 0
		.amdhsa_exception_fp_ieee_underflow 0
		.amdhsa_exception_fp_ieee_inexact 0
		.amdhsa_exception_int_div_zero 0
	.end_amdhsa_kernel
	.text
.Lfunc_end0:
	.size	fft_rtc_back_len1248_factors_2_2_13_2_3_2_2_wgs_52_tpt_52_halfLds_dp_op_CI_CI_sbrr_dirReg, .Lfunc_end0-fft_rtc_back_len1248_factors_2_2_13_2_3_2_2_wgs_52_tpt_52_halfLds_dp_op_CI_CI_sbrr_dirReg
                                        ; -- End function
	.section	.AMDGPU.csdata,"",@progbits
; Kernel info:
; codeLenInByte = 21824
; NumSgprs: 56
; NumVgprs: 252
; NumAgprs: 0
; TotalNumVgprs: 252
; ScratchSize: 0
; MemoryBound: 1
; FloatMode: 240
; IeeeMode: 1
; LDSByteSize: 0 bytes/workgroup (compile time only)
; SGPRBlocks: 6
; VGPRBlocks: 31
; NumSGPRsForWavesPerEU: 56
; NumVGPRsForWavesPerEU: 252
; AccumOffset: 252
; Occupancy: 2
; WaveLimiterHint : 1
; COMPUTE_PGM_RSRC2:SCRATCH_EN: 0
; COMPUTE_PGM_RSRC2:USER_SGPR: 2
; COMPUTE_PGM_RSRC2:TRAP_HANDLER: 0
; COMPUTE_PGM_RSRC2:TGID_X_EN: 1
; COMPUTE_PGM_RSRC2:TGID_Y_EN: 0
; COMPUTE_PGM_RSRC2:TGID_Z_EN: 0
; COMPUTE_PGM_RSRC2:TIDIG_COMP_CNT: 0
; COMPUTE_PGM_RSRC3_GFX90A:ACCUM_OFFSET: 62
; COMPUTE_PGM_RSRC3_GFX90A:TG_SPLIT: 0
	.text
	.p2alignl 6, 3212836864
	.fill 256, 4, 3212836864
	.type	__hip_cuid_f68f39aeaefac4ab,@object ; @__hip_cuid_f68f39aeaefac4ab
	.section	.bss,"aw",@nobits
	.globl	__hip_cuid_f68f39aeaefac4ab
__hip_cuid_f68f39aeaefac4ab:
	.byte	0                               ; 0x0
	.size	__hip_cuid_f68f39aeaefac4ab, 1

	.ident	"AMD clang version 19.0.0git (https://github.com/RadeonOpenCompute/llvm-project roc-6.4.0 25133 c7fe45cf4b819c5991fe208aaa96edf142730f1d)"
	.section	".note.GNU-stack","",@progbits
	.addrsig
	.addrsig_sym __hip_cuid_f68f39aeaefac4ab
	.amdgpu_metadata
---
amdhsa.kernels:
  - .agpr_count:     0
    .args:
      - .actual_access:  read_only
        .address_space:  global
        .offset:         0
        .size:           8
        .value_kind:     global_buffer
      - .offset:         8
        .size:           8
        .value_kind:     by_value
      - .actual_access:  read_only
        .address_space:  global
        .offset:         16
        .size:           8
        .value_kind:     global_buffer
      - .actual_access:  read_only
        .address_space:  global
        .offset:         24
        .size:           8
        .value_kind:     global_buffer
      - .actual_access:  read_only
        .address_space:  global
        .offset:         32
        .size:           8
        .value_kind:     global_buffer
      - .offset:         40
        .size:           8
        .value_kind:     by_value
      - .actual_access:  read_only
        .address_space:  global
        .offset:         48
        .size:           8
        .value_kind:     global_buffer
      - .actual_access:  read_only
        .address_space:  global
        .offset:         56
        .size:           8
        .value_kind:     global_buffer
      - .offset:         64
        .size:           4
        .value_kind:     by_value
      - .actual_access:  read_only
        .address_space:  global
        .offset:         72
        .size:           8
        .value_kind:     global_buffer
      - .actual_access:  read_only
        .address_space:  global
        .offset:         80
        .size:           8
        .value_kind:     global_buffer
      - .actual_access:  read_only
        .address_space:  global
        .offset:         88
        .size:           8
        .value_kind:     global_buffer
      - .actual_access:  write_only
        .address_space:  global
        .offset:         96
        .size:           8
        .value_kind:     global_buffer
    .group_segment_fixed_size: 0
    .kernarg_segment_align: 8
    .kernarg_segment_size: 104
    .language:       OpenCL C
    .language_version:
      - 2
      - 0
    .max_flat_workgroup_size: 52
    .name:           fft_rtc_back_len1248_factors_2_2_13_2_3_2_2_wgs_52_tpt_52_halfLds_dp_op_CI_CI_sbrr_dirReg
    .private_segment_fixed_size: 0
    .sgpr_count:     56
    .sgpr_spill_count: 0
    .symbol:         fft_rtc_back_len1248_factors_2_2_13_2_3_2_2_wgs_52_tpt_52_halfLds_dp_op_CI_CI_sbrr_dirReg.kd
    .uniform_work_group_size: 1
    .uses_dynamic_stack: false
    .vgpr_count:     252
    .vgpr_spill_count: 0
    .wavefront_size: 64
amdhsa.target:   amdgcn-amd-amdhsa--gfx950
amdhsa.version:
  - 1
  - 2
...

	.end_amdgpu_metadata
